;; amdgpu-corpus repo=ROCm/aiter kind=harvested arch=n/a opt=n/a

/root/src/amdgpu-assembly/repos/ROCm__aiter/hsa/gfx942/fmoe/silu/fmoe_bf16_pertokenFp8_g1u1_silu_vs_1tg_32x256.co:	file format elf64-amdgpu

Disassembly of section .text:

0000000000002e00 <_ZN5aiter45fmoe_bf16_pertokenFp8_g1u1_silu_vs_1tg_32x256E>:
	s_and_b32 s1, s1, 0xffff                                   // 000000002E00: 8601FF01 0000FFFF
	s_load_dwordx2 s[8:9], s[0:1], 0x0                         // 000000002E08: C0060200 00000000
	s_load_dwordx2 s[20:21], s[0:1], 0x10                      // 000000002E10: C0060500 00000010
	s_load_dwordx2 s[24:25], s[0:1], 0x20                      // 000000002E18: C0060600 00000020
	s_load_dwordx2 s[50:51], s[0:1], 0x30                      // 000000002E20: C0060C80 00000030
	s_load_dwordx2 s[12:13], s[0:1], 0x40                      // 000000002E28: C0060300 00000040
	s_load_dwordx2 s[28:29], s[0:1], 0x50                      // 000000002E30: C0060700 00000050
	s_load_dwordx2 s[32:33], s[0:1], 0x60                      // 000000002E38: C0060800 00000060
	s_load_dwordx2 s[16:17], s[0:1], 0x70                      // 000000002E40: C0060400 00000070
	s_load_dwordx2 s[36:37], s[0:1], 0x80                      // 000000002E48: C0060900 00000080
	s_load_dwordx2 s[44:45], s[0:1], 0x90                      // 000000002E50: C0060B00 00000090
	s_load_dwordx2 s[40:41], s[0:1], 0xa0                      // 000000002E58: C0060A00 000000A0
	s_load_dwordx2 s[46:47], s[0:1], 0xb0                      // 000000002E60: C0060B80 000000B0
	s_load_dword s64, s[0:1], 0xc0                             // 000000002E68: C0021000 000000C0
	s_load_dword s65, s[0:1], 0xd0                             // 000000002E70: C0021040 000000D0
	s_load_dword s66, s[0:1], 0xe0                             // 000000002E78: C0021080 000000E0
	s_load_dword s67, s[0:1], 0xf0                             // 000000002E80: C00210C0 000000F0
	s_load_dword s68, s[0:1], 0x100                            // 000000002E88: C0021100 00000100
	s_load_dword s69, s[0:1], 0x110                            // 000000002E90: C0021140 00000110
	s_load_dword s70, s[0:1], 0x120                            // 000000002E98: C0021180 00000120
	s_load_dword s71, s[0:1], 0x130                            // 000000002EA0: C00211C0 00000130
	s_load_dword s72, s[0:1], 0x140                            // 000000002EA8: C0021200 00000140
	s_load_dword s73, s[0:1], 0x150                            // 000000002EB0: C0021240 00000150
	s_load_dword s74, s[0:1], 0x160                            // 000000002EB8: C0021280 00000160
	s_load_dword s75, s[0:1], 0x170                            // 000000002EC0: C00212C0 00000170
	s_load_dword s76, s[0:1], 0x180                            // 000000002EC8: C0021300 00000180
	v_lshrrev_b32_e32 v1, 10, v0                               // 000000002ED0: 2002008A
	v_lshrrev_b32_e32 v2, 10, v1                               // 000000002ED4: 2004028A
	v_and_b32_e32 v2, 0x3ff, v2                                // 000000002ED8: 260404FF 000003FF
	v_and_b32_e32 v1, 0x3ff, v1                                // 000000002EE0: 260202FF 000003FF
	v_and_b32_e32 v0, 0x3ff, v0                                // 000000002EE8: 260000FF 000003FF
	v_lshrrev_b32_e32 v3, 6, v0                                // 000000002EF0: 20060086
	v_and_b32_e32 v0, 63, v0                                   // 000000002EF4: 260000BF
	s_mov_b32 s2, s2                                           // 000000002EF8: BE820002
	s_mov_b32 s3, s3                                           // 000000002EFC: BE830003
	s_mov_b32 s4, s4                                           // 000000002F00: BE840004
	v_readfirstlane_b32 s7, v3                                 // 000000002F04: 7E0E0503
	s_waitcnt lgkmcnt(0)                                       // 000000002F08: BF8CC07F
	s_and_b32 s51, s51, 0xffff                                 // 000000002F0C: 8633FF33 0000FFFF
	s_load_dword s50, s[50:51], 0x0                            // 000000002F14: C0020C99 00000000
	s_and_b32 s45, s45, 0xffff                                 // 000000002F1C: 862DFF2D 0000FFFF
	s_and_b32 s47, s47, 0xffff                                 // 000000002F24: 862FFF2F 0000FFFF
	s_and_b32 s9, s9, 0xffff                                   // 000000002F2C: 8609FF09 0000FFFF
	s_mul_i32 s60, s66, s68                                    // 000000002F34: 923C4442
	s_mul_i32 s61, s66, 4                                      // 000000002F38: 923D8442
	s_mov_b32 s22, s60                                         // 000000002F3C: BE96003C
	s_mov_b32 s26, -16                                         // 000000002F40: BE9A00D0
	s_mov_b32 s14, -16                                         // 000000002F44: BE8E00D0
	s_mov_b32 s42, -16                                         // 000000002F48: BEAA00D0
	s_mov_b32 s30, s61                                         // 000000002F4C: BE9E003D
	s_mov_b32 s34, 0x400                                       // 000000002F50: BEA200FF 00000400
	s_mov_b32 s38, 0x400                                       // 000000002F58: BEA600FF 00000400
	s_mov_b32 s18, -16                                         // 000000002F60: BE9200D0
	s_mov_b32 s23, 0x20000                                     // 000000002F64: BE9700FF 00020000
	s_mov_b32 s27, 0x20000                                     // 000000002F6C: BE9B00FF 00020000
	s_mov_b32 s15, 0x20000                                     // 000000002F74: BE8F00FF 00020000
	s_mov_b32 s43, 0x20000                                     // 000000002F7C: BEAB00FF 00020000
	s_mov_b32 s31, 0x20000                                     // 000000002F84: BE9F00FF 00020000
	s_mov_b32 s35, 0x20000                                     // 000000002F8C: BEA300FF 00020000
	s_mov_b32 s39, 0x20000                                     // 000000002F94: BEA700FF 00020000
	s_mov_b32 s19, 0x20000                                     // 000000002F9C: BE9300FF 00020000
	s_and_b32 s21, s21, 0xffff                                 // 000000002FA4: 8615FF15 0000FFFF
	s_and_b32 s25, s25, 0xffff                                 // 000000002FAC: 8619FF19 0000FFFF
	s_and_b32 s13, s13, 0xffff                                 // 000000002FB4: 860DFF0D 0000FFFF
	s_and_b32 s41, s41, 0xffff                                 // 000000002FBC: 8629FF29 0000FFFF
	s_and_b32 s29, s29, 0xffff                                 // 000000002FC4: 861DFF1D 0000FFFF
	s_and_b32 s33, s33, 0xffff                                 // 000000002FCC: 8621FF21 0000FFFF
	s_and_b32 s37, s37, 0xffff                                 // 000000002FD4: 8625FF25 0000FFFF
	s_and_b32 s17, s17, 0xffff                                 // 000000002FDC: 8611FF11 0000FFFF
	s_or_b32 s21, s21, 0x40000                                 // 000000002FE4: 8715FF15 00040000
	s_or_b32 s25, s25, 0x40000                                 // 000000002FEC: 8719FF19 00040000
	s_or_b32 s13, s13, 0x40000                                 // 000000002FF4: 870DFF0D 00040000
	s_or_b32 s41, s41, 0x40000                                 // 000000002FFC: 8729FF29 00040000
	s_or_b32 s29, s29, 0x40000                                 // 000000003004: 871DFF1D 00040000
	s_or_b32 s33, s33, 0x40000                                 // 00000000300C: 8721FF21 00040000
	s_or_b32 s37, s37, 0x40000                                 // 000000003014: 8725FF25 00040000
	s_or_b32 s17, s17, 0x40000                                 // 00000000301C: 8711FF11 00040000
	v_accvgpr_write_b32 a127, 0                                // 000000003024: D3D9407F 18000080
	v_mov_b32_e32 v223, 0                                      // 00000000302C: 7FBE0280
	s_waitcnt lgkmcnt(0)                                       // 000000003030: BF8CC07F
	s_mul_i32 s60, s3, 32                                      // 000000003034: 923CA003
	s_cmp_lt_i32 s60, s50                                      // 000000003038: BF04323C
	s_cbranch_scc0 label_1AAC                                  // 00000000303C: BF841A1C
	s_mov_b32 s80, 0                                           // 000000003040: BED00080
	s_mov_b32 s81, s64                                         // 000000003044: BED10040
	s_mul_i32 s60, s3, 4                                       // 000000003048: 923C8403
	s_add_u32 s46, s60, s46                                    // 00000000304C: 802E2E3C
	s_addc_u32 s47, 0, s47                                     // 000000003050: 822F2F80
	s_load_dword s5, s[46:47], 0x0                             // 000000003054: C0020157 00000000
	s_mul_i32 s60, s3, 32                                      // 00000000305C: 923CA003
	s_mul_i32 s60, 4, s60                                      // 000000003060: 923C3C84
	v_and_b32_e32 v46, 15, v0                                  // 000000003064: 265C008F
	v_lshlrev_b32_e32 v46, 2, v46                              // 000000003068: 245C5C82
	v_add_u32_e32 v46, s60, v46                                // 00000000306C: 685C5C3C
	v_mov_b32_e32 v47, 0                                       // 000000003070: 7E5E0280
	global_load_dword v6, v46, s[44:45]                        // 000000003074: DC508000 062C002E
	v_add_u32_e32 v46, 64, v46                                 // 00000000307C: 685C5CC0
	global_load_dword v7, v46, s[44:45]                        // 000000003080: DC508000 072C002E
	s_mul_i32 s60, s3, 32                                      // 000000003088: 923CA003
	s_add_u32 s60, s7, s60                                     // 00000000308C: 803C3C07
	s_mul_i32 s60, 4, s60                                      // 000000003090: 923C3C84
	s_add_u32 s44, s60, s44                                    // 000000003094: 802C2C3C
	s_addc_u32 s45, 0, s45                                     // 000000003098: 822D2D80
	s_load_dword s82, s[44:45], 0x0                            // 00000000309C: C0021496 00000000
	s_load_dword s83, s[44:45], 0x10                           // 0000000030A4: C00214D6 00000010
	s_load_dword s84, s[44:45], 0x20                           // 0000000030AC: C0021516 00000020
	s_load_dword s85, s[44:45], 0x30                           // 0000000030B4: C0021556 00000030
	s_load_dword s86, s[44:45], 0x40                           // 0000000030BC: C0021596 00000040
	s_load_dword s87, s[44:45], 0x50                           // 0000000030C4: C00215D6 00000050
	s_load_dword s88, s[44:45], 0x60                           // 0000000030CC: C0021616 00000060
	s_load_dword s89, s[44:45], 0x70                           // 0000000030D4: C0021656 00000070
	s_waitcnt lgkmcnt(0)                                       // 0000000030DC: BF8CC07F
	v_lshlrev_b32_e32 v46, 2, v0                               // 0000000030E0: 245C0082
	s_and_b32 s82, s82, 0xffffff                               // 0000000030E4: 8652FF52 00FFFFFF
	s_mul_i32 s60, s82, s68                                    // 0000000030EC: 923C4452
	v_add_u32_e64 v24, v46, s60                                // 0000000030F0: D1340018 0000792E
	s_and_b32 s83, s83, 0xffffff                               // 0000000030F8: 8653FF53 00FFFFFF
	s_mul_i32 s60, s83, s68                                    // 000000003100: 923C4453
	v_add_u32_e64 v25, v46, s60                                // 000000003104: D1340019 0000792E
	s_and_b32 s84, s84, 0xffffff                               // 00000000310C: 8654FF54 00FFFFFF
	s_mul_i32 s60, s84, s68                                    // 000000003114: 923C4454
	v_add_u32_e64 v26, v46, s60                                // 000000003118: D134001A 0000792E
	s_and_b32 s85, s85, 0xffffff                               // 000000003120: 8655FF55 00FFFFFF
	s_mul_i32 s60, s85, s68                                    // 000000003128: 923C4455
	v_add_u32_e64 v27, v46, s60                                // 00000000312C: D134001B 0000792E
	s_and_b32 s86, s86, 0xffffff                               // 000000003134: 8656FF56 00FFFFFF
	s_mul_i32 s60, s86, s68                                    // 00000000313C: 923C4456
	v_add_u32_e64 v28, v46, s60                                // 000000003140: D134001C 0000792E
	s_and_b32 s87, s87, 0xffffff                               // 000000003148: 8657FF57 00FFFFFF
	s_mul_i32 s60, s87, s68                                    // 000000003150: 923C4457
	v_add_u32_e64 v29, v46, s60                                // 000000003154: D134001D 0000792E
	s_and_b32 s88, s88, 0xffffff                               // 00000000315C: 8658FF58 00FFFFFF
	s_mul_i32 s60, s88, s68                                    // 000000003164: 923C4458
	v_add_u32_e64 v30, v46, s60                                // 000000003168: D134001E 0000792E
	s_and_b32 s89, s89, 0xffffff                               // 000000003170: 8659FF59 00FFFFFF
	s_mul_i32 s60, s89, s68                                    // 000000003178: 923C4459
	v_add_u32_e64 v31, v46, s60                                // 00000000317C: D134001F 0000792E
	v_lshlrev_b32_e32 v46, 2, v0                               // 000000003184: 245C0082
	s_mul_i32 s60, s82, s71                                    // 000000003188: 923C4752
	v_add_u32_e64 v80, v46, s60                                // 00000000318C: D1340050 0000792E
	v_mov_b32_e32 v81, 0                                       // 000000003194: 7EA20280
	s_mul_i32 s60, s83, s71                                    // 000000003198: 923C4753
	v_add_u32_e64 v82, v46, s60                                // 00000000319C: D1340052 0000792E
	v_mov_b32_e32 v83, 0                                       // 0000000031A4: 7EA60280
	s_mul_i32 s60, s84, s71                                    // 0000000031A8: 923C4754
	v_add_u32_e64 v84, v46, s60                                // 0000000031AC: D1340054 0000792E
	v_mov_b32_e32 v85, 0                                       // 0000000031B4: 7EAA0280
	s_mul_i32 s60, s85, s71                                    // 0000000031B8: 923C4755
	v_add_u32_e64 v86, v46, s60                                // 0000000031BC: D1340056 0000792E
	v_mov_b32_e32 v87, 0                                       // 0000000031C4: 7EAE0280
	s_mul_i32 s60, s86, s71                                    // 0000000031C8: 923C4756
	v_add_u32_e64 v88, v46, s60                                // 0000000031CC: D1340058 0000792E
	v_mov_b32_e32 v89, 0                                       // 0000000031D4: 7EB20280
	s_mul_i32 s60, s87, s71                                    // 0000000031D8: 923C4757
	v_add_u32_e64 v90, v46, s60                                // 0000000031DC: D134005A 0000792E
	v_mov_b32_e32 v91, 0                                       // 0000000031E4: 7EB60280
	s_mul_i32 s60, s88, s71                                    // 0000000031E8: 923C4758
	v_add_u32_e64 v92, v46, s60                                // 0000000031EC: D134005C 0000792E
	v_mov_b32_e32 v93, 0                                       // 0000000031F4: 7EBA0280
	s_mul_i32 s60, s89, s71                                    // 0000000031F8: 923C4759
	v_add_u32_e64 v94, v46, s60                                // 0000000031FC: D134005E 0000792E
	v_mov_b32_e32 v95, 0                                       // 000000003204: 7EBE0280
	s_mul_i32 s60, s7, 0x820                                   // 000000003208: 923CFF07 00000820
	s_add_u32 s50, 0, s60                                      // 000000003210: 80323C80
	s_add_u32 s51, 0x2080, s50                                 // 000000003214: 803332FF 00002080
	v_lshrrev_b32_e32 v46, 4, v0                               // 00000000321C: 205C0084
	v_lshlrev_b32_e32 v47, 2, v46                              // 000000003220: 245E5C82
	v_and_b32_e32 v46, 15, v0                                  // 000000003224: 265C008F
	v_lshrrev_b32_e32 v48, 2, v46                              // 000000003228: 20605C82
	v_lshlrev_b32_e32 v48, 6, v48                              // 00000000322C: 24606086
	v_add_u32_e32 v47, v48, v47                                // 000000003230: 685E5F30
	v_and_b32_e32 v46, 3, v0                                   // 000000003234: 265C0083
	v_mul_i32_i24_e32 v48, 0x208, v46                          // 000000003238: 0C605CFF 00000208
	v_add_u32_e32 v47, v48, v47                                // 000000003240: 685E5F30
	v_lshlrev_b32_e32 v2, 2, v47                               // 000000003244: 24045E82
	s_mul_i32 s60, s2, 0x100                                   // 000000003248: 923CFF02 00000100
	s_mul_i32 s60, s60, s69                                    // 000000003250: 923C453C
	s_mul_i32 s61, s5, s72                                     // 000000003254: 923D4805
	s_add_u32 s60, s61, s60                                    // 000000003258: 803C3C3D
	s_add_u32 s24, s60, s24                                    // 00000000325C: 8018183C
	s_addc_u32 s25, 0, s25                                     // 000000003260: 82191980
	s_mul_i32 s60, s7, 16                                      // 000000003264: 923C9007
	s_mul_i32 s60, s60, s69                                    // 000000003268: 923C453C
	v_lshlrev_b32_e32 v32, 4, v0                               // 00000000326C: 24400084
	v_add_u32_e32 v32, s60, v32                                // 000000003270: 6840403C
	s_mul_i32 s60, 64, s69                                     // 000000003274: 923C45C0
	v_add_u32_e32 v33, s60, v32                                // 000000003278: 6842403C
	v_add_u32_e32 v34, s60, v33                                // 00000000327C: 6844423C
	v_add_u32_e32 v35, s60, v34                                // 000000003280: 6846443C
	s_mov_b32 s92, s24                                         // 000000003284: BEDC0018
	s_mov_b32 s93, s25                                         // 000000003288: BEDD0019
	s_mov_b32 s94, s26                                         // 00000000328C: BEDE001A
	s_mov_b32 s95, s27                                         // 000000003290: BEDF001B
	s_mul_i32 s60, s69, s65                                    // 000000003294: 923C4145
	s_add_u32 s92, s60, s92                                    // 000000003298: 805C5C3C
	s_addc_u32 s93, 0, s93                                     // 00000000329C: 825D5D80
	s_mul_i32 s60, s2, 0x1000                                  // 0000000032A0: 923CFF02 00001000
	s_mul_i32 s61, s5, s73                                     // 0000000032A8: 923D4905
	s_add_u32 s60, s61, s60                                    // 0000000032AC: 803C3C3D
	s_add_u32 s12, s60, s12                                    // 0000000032B0: 800C0C3C
	s_addc_u32 s13, 0, s13                                     // 0000000032B4: 820D0D80
	s_mul_i32 s60, s7, 16                                      // 0000000032B8: 923C9007
	s_mul_i32 s60, s60, s70                                    // 0000000032BC: 923C463C
	v_lshlrev_b32_e32 v36, 4, v0                               // 0000000032C0: 24480084
	v_add_u32_e32 v36, s60, v36                                // 0000000032C4: 6848483C
	s_mul_i32 s60, 64, s70                                     // 0000000032C8: 923C46C0
	v_add_u32_e32 v37, s60, v36                                // 0000000032CC: 684A483C
	v_add_u32_e32 v38, s60, v37                                // 0000000032D0: 684C4A3C
	v_add_u32_e32 v39, s60, v38                                // 0000000032D4: 684E4C3C
	s_mul_i32 s60, s70, 0x100                                  // 0000000032D8: 923CFF46 00000100
	s_mov_b32 s78, 0x400                                       // 0000000032E0: BECE00FF 00000400
	s_mul_i32 s61, s78, 3                                      // 0000000032E8: 923D834E
	s_sub_u32 s56, s60, s61                                    // 0000000032EC: 80B83D3C
	s_mul_i32 s60, s3, 32                                      // 0000000032F0: 923CA003
	s_mul_i32 s60, 4, s60                                      // 0000000032F4: 923C3C84
	s_add_u32 s40, s60, s40                                    // 0000000032F8: 8028283C
	s_addc_u32 s41, 0, s41                                     // 0000000032FC: 82292980
	v_and_b32_e32 v46, 15, v0                                  // 000000003300: 265C008F
	v_lshlrev_b32_e32 v8, 2, v46                               // 000000003304: 24105C82
	v_add_u32_e32 v9, 64, v8                                   // 000000003308: 681210C0
	v_lshrrev_b32_e32 v46, 4, v0                               // 00000000330C: 205C0084
	v_lshlrev_b32_e32 v47, 2, v46                              // 000000003310: 245E5C82
	v_and_b32_e32 v46, 15, v0                                  // 000000003314: 265C008F
	v_lshrrev_b32_e32 v48, 2, v46                              // 000000003318: 20605C82
	v_lshlrev_b32_e32 v48, 6, v48                              // 00000000331C: 24606086
	v_add_u32_e32 v47, v48, v47                                // 000000003320: 685E5F30
	v_and_b32_e32 v46, 3, v0                                   // 000000003324: 265C0083
	v_add_u32_e32 v47, v46, v47                                // 000000003328: 685E5F2E
	v_lshlrev_b32_e32 v10, 2, v47                              // 00000000332C: 24145E82
	v_add_u32_e32 v11, 0x400, v10                              // 000000003330: 681614FF 00000400
	s_mul_i32 s60, s7, 16                                      // 000000003338: 923C9007
	s_mul_i32 s60, s60, 4                                      // 00000000333C: 923C843C
	v_add_u32_e32 v10, s60, v10                                // 000000003340: 6814143C
	v_add_u32_e32 v11, s60, v11                                // 000000003344: 6816163C
	v_mov_b32_e32 v5, v10                                      // 000000003348: 7E0A030A
	s_mul_i32 s60, s2, 0x100                                   // 00000000334C: 923CFF02 00000100
	s_mul_i32 s60, s60, 4                                      // 000000003354: 923C843C
	s_mul_i32 s61, s5, s74                                     // 000000003358: 923D4A05
	s_add_u32 s61, s61, s60                                    // 00000000335C: 803D3C3D
	s_mul_i32 s62, s5, s76                                     // 000000003360: 923E4C05
	s_add_u32 s62, s62, s60                                    // 000000003364: 803E3C3E
	s_add_u32 s32, s61, s32                                    // 000000003368: 8020203D
	s_addc_u32 s33, 0, s33                                     // 00000000336C: 82212180
	s_add_u32 s36, s62, s36                                    // 000000003370: 8024243E
	s_addc_u32 s37, 0, s37                                     // 000000003374: 82252580
	s_mul_i32 s60, s5, s75                                     // 000000003378: 923C4B05
	s_add_u32 s16, s60, s16                                    // 00000000337C: 8010103C
	s_addc_u32 s17, 0, s17                                     // 000000003380: 82111180
	s_mov_b32 s57, 0x100                                       // 000000003384: BEB900FF 00000100
	s_mov_b32 s58, 0x1000                                      // 00000000338C: BEBA00FF 00001000
	s_mov_b32 s79, 0x400                                       // 000000003394: BECF00FF 00000400
	s_mov_b32 s59, 0                                           // 00000000339C: BEBB0080
	s_mov_b32 s90, s58                                         // 0000000033A0: BEDA003A
	s_mov_b32 s52, 0x7060302                                   // 0000000033A4: BEB400FF 07060302
	s_mov_b32 s53, 0x400                                       // 0000000033AC: BEB500FF 00000400
	s_mov_b32 s54, 0x40100                                     // 0000000033B4: BEB600FF 00040100
	s_mov_b32 s55, 0x4020100                                   // 0000000033BC: BEB700FF 04020100
	s_mov_b32 s6, 0x3fb8aa3b                                   // 0000000033C4: BE8600FF 3FB8AA3B
	s_mov_b32 s77, 0xbd92220c                                  // 0000000033CC: BECD00FF BD92220C
	s_mov_b32 m0, s50                                          // 0000000033D4: BEFC0032
	v_mov_b32_e32 v1, 0xbfcc4231                               // 0000000033D8: 7E0202FF BFCC4231
	v_mov_b32_e32 v41, 0xffff0000                              // 0000000033E0: 7E5202FF FFFF0000
	v_mov_b32_e32 v42, 0x7fff0000                              // 0000000033E8: 7E5402FF 7FFF0000
	v_mov_b32_e32 v43, 0x7fff                                  // 0000000033F0: 7E5602FF 00007FFF
	s_waitcnt vmcnt(0) expcnt(0) lgkmcnt(0)                    // 0000000033F8: BF8C0000
	v_and_b32_e32 v6, 0xffffff, v6                             // 0000000033FC: 260C0CFF 00FFFFFF
	v_and_b32_e32 v7, 0xffffff, v7                             // 000000003404: 260E0EFF 00FFFFFF
	v_lshlrev_b32_e32 v6, 2, v6                                // 00000000340C: 240C0C82
	v_lshlrev_b32_e32 v7, 2, v7                                // 000000003410: 240E0E82
	buffer_load_dword v13, v6, s[28:31], 0 offen               // 000000003414: E0501000 80070D06
	buffer_load_dword v14, v7, s[28:31], 0 offen               // 00000000341C: E0501000 80070E07
	buffer_load_dword v15, v10, s[32:35], 0 offen              // 000000003424: E0501000 80080F0A
	buffer_load_dword v16, v11, s[32:35], 0 offen              // 00000000342C: E0501000 8008100B
	s_mul_i32 s60, 4, s65                                      // 000000003434: 923C4184
	s_add_u32 s32, s60, s32                                    // 000000003438: 8020203C
	s_addc_u32 s33, 0, s33                                     // 00000000343C: 82212180
	buffer_load_dword v44, v10, s[32:35], 0 offen              // 000000003440: E0501000 80082C0A
	buffer_load_dword v45, v11, s[32:35], 0 offen              // 000000003448: E0501000 80082D0B
	buffer_load_dword v17, v8, s[40:43], 0 offen               // 000000003450: E0501000 800A1108
	buffer_load_dword v18, v9, s[40:43], 0 offen               // 000000003458: E0501000 800A1209
	buffer_load_dword v24, s[20:23], 0 offen lds               // 000000003460: E0511000 80050018
	s_add_u32 m0, 0x100, s50                                   // 000000003468: 807C32FF 00000100
	buffer_load_dword v25, s[20:23], 0 offen lds               // 000000003470: E0511000 80050019
	s_add_u32 m0, 0x200, s50                                   // 000000003478: 807C32FF 00000200
	buffer_load_dword v26, s[20:23], 0 offen lds               // 000000003480: E0511000 8005001A
	s_add_u32 m0, 0x300, s50                                   // 000000003488: 807C32FF 00000300
	buffer_load_dword v27, s[20:23], 0 offen lds               // 000000003490: E0511000 8005001B
	s_add_u32 m0, 0x400, s50                                   // 000000003498: 807C32FF 00000400
	buffer_load_dword v28, s[20:23], 0 offen lds               // 0000000034A0: E0511000 8005001C
	s_add_u32 m0, 0x500, s50                                   // 0000000034A8: 807C32FF 00000500
	buffer_load_dword v29, s[20:23], 0 offen lds               // 0000000034B0: E0511000 8005001D
	s_add_u32 m0, 0x600, s50                                   // 0000000034B8: 807C32FF 00000600
	buffer_load_dword v30, s[20:23], 0 offen lds               // 0000000034C0: E0511000 8005001E
	s_add_u32 m0, 0x700, s50                                   // 0000000034C8: 807C32FF 00000700
	buffer_load_dword v31, s[20:23], 0 offen lds               // 0000000034D0: E0511000 8005001F
	s_add_u32 m0, 0, s51                                       // 0000000034D8: 807C3380
	s_add_u32 s20, s57, s20                                    // 0000000034DC: 80141439
	s_addc_u32 s21, 0, s21                                     // 0000000034E0: 82151580
	buffer_load_dwordx4 a[0:3], v32, s[24:27], 0 offen         // 0000000034E4: E05C1000 80860020
	buffer_load_dwordx4 a[4:7], v32, s[24:27], 0 offen offset:1024// 0000000034EC: E05C1400 80860420
	buffer_load_dwordx4 a[8:11], v32, s[24:27], 0 offen offset:2048// 0000000034F4: E05C1800 80860820
	buffer_load_dwordx4 a[12:15], v32, s[24:27], 0 offen offset:3072// 0000000034FC: E05C1C00 80860C20
	buffer_load_dwordx4 a[16:19], v33, s[24:27], 0 offen       // 000000003504: E05C1000 80861021
	buffer_load_dwordx4 a[20:23], v33, s[24:27], 0 offen offset:1024// 00000000350C: E05C1400 80861421
	buffer_load_dwordx4 a[24:27], v33, s[24:27], 0 offen offset:2048// 000000003514: E05C1800 80861821
	buffer_load_dwordx4 a[28:31], v33, s[24:27], 0 offen offset:3072// 00000000351C: E05C1C00 80861C21
	buffer_load_dwordx4 a[32:35], v34, s[24:27], 0 offen       // 000000003524: E05C1000 80862022
	buffer_load_dwordx4 a[36:39], v34, s[24:27], 0 offen offset:1024// 00000000352C: E05C1400 80862422
	buffer_load_dwordx4 a[40:43], v34, s[24:27], 0 offen offset:2048// 000000003534: E05C1800 80862822
	buffer_load_dwordx4 a[44:47], v34, s[24:27], 0 offen offset:3072// 00000000353C: E05C1C00 80862C22
	buffer_load_dwordx4 a[48:51], v35, s[24:27], 0 offen       // 000000003544: E05C1000 80863023
	buffer_load_dwordx4 a[52:55], v35, s[24:27], 0 offen offset:1024// 00000000354C: E05C1400 80863423
	buffer_load_dwordx4 a[56:59], v35, s[24:27], 0 offen offset:2048// 000000003554: E05C1800 80863823
	buffer_load_dwordx4 a[60:63], v35, s[24:27], 0 offen offset:3072// 00000000355C: E05C1C00 80863C23
	s_add_u32 s24, s58, s24                                    // 000000003564: 8018183A
	s_addc_u32 s25, 0, s25                                     // 000000003568: 82191980
	v_mov_b32_e32 v128, 0                                      // 00000000356C: 7F000280
	v_mov_b32_e32 v64, 0                                       // 000000003570: 7E800280
	v_mov_b32_e32 v129, 0                                      // 000000003574: 7F020280
	v_mov_b32_e32 v65, 0                                       // 000000003578: 7E820280
	v_mov_b32_e32 v130, 0                                      // 00000000357C: 7F040280
	v_mov_b32_e32 v66, 0                                       // 000000003580: 7E840280
	v_mov_b32_e32 v131, 0                                      // 000000003584: 7F060280
	v_mov_b32_e32 v67, 0                                       // 000000003588: 7E860280
	v_mov_b32_e32 v132, 0                                      // 00000000358C: 7F080280
	v_mov_b32_e32 v68, 0                                       // 000000003590: 7E880280
	v_mov_b32_e32 v133, 0                                      // 000000003594: 7F0A0280
	v_mov_b32_e32 v69, 0                                       // 000000003598: 7E8A0280
	v_mov_b32_e32 v134, 0                                      // 00000000359C: 7F0C0280
	v_mov_b32_e32 v70, 0                                       // 0000000035A0: 7E8C0280
	v_mov_b32_e32 v135, 0                                      // 0000000035A4: 7F0E0280
	v_mov_b32_e32 v71, 0                                       // 0000000035A8: 7E8E0280
	v_mov_b32_e32 v136, 0                                      // 0000000035AC: 7F100280
	v_mov_b32_e32 v72, 0                                       // 0000000035B0: 7E900280
	v_mov_b32_e32 v137, 0                                      // 0000000035B4: 7F120280
	v_mov_b32_e32 v73, 0                                       // 0000000035B8: 7E920280
	v_mov_b32_e32 v138, 0                                      // 0000000035BC: 7F140280
	v_mov_b32_e32 v74, 0                                       // 0000000035C0: 7E940280
	v_mov_b32_e32 v139, 0                                      // 0000000035C4: 7F160280
	v_mov_b32_e32 v75, 0                                       // 0000000035C8: 7E960280
	v_mov_b32_e32 v140, 0                                      // 0000000035CC: 7F180280
	v_mov_b32_e32 v76, 0                                       // 0000000035D0: 7E980280
	v_mov_b32_e32 v141, 0                                      // 0000000035D4: 7F1A0280
	v_mov_b32_e32 v77, 0                                       // 0000000035D8: 7E9A0280
	v_mov_b32_e32 v142, 0                                      // 0000000035DC: 7F1C0280
	v_mov_b32_e32 v78, 0                                       // 0000000035E0: 7E9C0280
	v_mov_b32_e32 v143, 0                                      // 0000000035E4: 7F1E0280
	v_mov_b32_e32 v79, 0                                       // 0000000035E8: 7E9E0280
	v_mov_b32_e32 v144, 0                                      // 0000000035EC: 7F200280
	v_mov_b32_e32 v80, 0                                       // 0000000035F0: 7EA00280
	v_mov_b32_e32 v145, 0                                      // 0000000035F4: 7F220280
	v_mov_b32_e32 v81, 0                                       // 0000000035F8: 7EA20280
	v_mov_b32_e32 v146, 0                                      // 0000000035FC: 7F240280
	v_mov_b32_e32 v82, 0                                       // 000000003600: 7EA40280
	v_mov_b32_e32 v147, 0                                      // 000000003604: 7F260280
	v_mov_b32_e32 v83, 0                                       // 000000003608: 7EA60280
	v_mov_b32_e32 v148, 0                                      // 00000000360C: 7F280280
	v_mov_b32_e32 v84, 0                                       // 000000003610: 7EA80280
	v_mov_b32_e32 v149, 0                                      // 000000003614: 7F2A0280
	v_mov_b32_e32 v85, 0                                       // 000000003618: 7EAA0280
	v_mov_b32_e32 v150, 0                                      // 00000000361C: 7F2C0280
	v_mov_b32_e32 v86, 0                                       // 000000003620: 7EAC0280
	v_mov_b32_e32 v151, 0                                      // 000000003624: 7F2E0280
	v_mov_b32_e32 v87, 0                                       // 000000003628: 7EAE0280
	v_mov_b32_e32 v152, 0                                      // 00000000362C: 7F300280
	v_mov_b32_e32 v88, 0                                       // 000000003630: 7EB00280
	v_mov_b32_e32 v153, 0                                      // 000000003634: 7F320280
	v_mov_b32_e32 v89, 0                                       // 000000003638: 7EB20280
	v_mov_b32_e32 v154, 0                                      // 00000000363C: 7F340280
	v_mov_b32_e32 v90, 0                                       // 000000003640: 7EB40280
	v_mov_b32_e32 v155, 0                                      // 000000003644: 7F360280
	v_mov_b32_e32 v91, 0                                       // 000000003648: 7EB60280
	v_mov_b32_e32 v156, 0                                      // 00000000364C: 7F380280
	v_mov_b32_e32 v92, 0                                       // 000000003650: 7EB80280
	v_mov_b32_e32 v157, 0                                      // 000000003654: 7F3A0280
	v_mov_b32_e32 v93, 0                                       // 000000003658: 7EBA0280
	v_mov_b32_e32 v158, 0                                      // 00000000365C: 7F3C0280
	v_mov_b32_e32 v94, 0                                       // 000000003660: 7EBC0280
	v_mov_b32_e32 v159, 0                                      // 000000003664: 7F3E0280
	v_mov_b32_e32 v95, 0                                       // 000000003668: 7EBE0280
	v_lshrrev_b32_e32 v46, 4, v0                               // 00000000366C: 205C0084
	v_mul_i32_i24_e32 v3, 34, v46                              // 000000003670: 0C065CA2
	v_and_b32_e32 v46, 15, v0                                  // 000000003674: 265C008F
	v_mul_i32_i24_e32 v47, 2, v46                              // 000000003678: 0C5E5C82
	v_add_u32_e32 v3, v47, v3                                  // 00000000367C: 6806072F
	s_mul_i32 s60, s7, 0x88                                    // 000000003680: 923CFF07 00000088
	v_add_u32_e32 v3, s60, v3                                  // 000000003688: 6806063C
	v_lshlrev_b32_e32 v3, 2, v3                                // 00000000368C: 24060682
	v_lshrrev_b32_e32 v46, 1, v0                               // 000000003690: 205C0081
	v_mul_i32_i24_e32 v4, 34, v46                              // 000000003694: 0C085CA2
	v_and_b32_e32 v47, 1, v0                                   // 000000003698: 265E0081
	v_add_u32_e32 v4, v47, v4                                  // 00000000369C: 6808092F
	s_mul_i32 s60, s7, 2                                       // 0000000036A0: 923C8207
	v_add_u32_e32 v4, s60, v4                                  // 0000000036A4: 6808083C
	v_lshlrev_b32_e32 v4, 2, v4                                // 0000000036A8: 24080882
	s_waitcnt vmcnt(16)                                        // 0000000036AC: BF8C4F70
	s_barrier                                                  // 0000000036B0: BF8A0000
	ds_read_b128 v[160:163], v2                                // 0000000036B4: D9FE0000 A0000002
	ds_read_b128 v[164:167], v2 offset:64                      // 0000000036BC: D9FE0040 A4000002
	ds_read_b128 v[168:171], v2 offset:128                     // 0000000036C4: D9FE0080 A8000002
	ds_read_b128 v[172:175], v2 offset:192                     // 0000000036CC: D9FE00C0 AC000002
	ds_read_b128 v[176:179], v2 offset:1024                    // 0000000036D4: D9FE0400 B0000002
	ds_read_b128 v[180:183], v2 offset:1088                    // 0000000036DC: D9FE0440 B4000002
	ds_read_b128 v[184:187], v2 offset:1152                    // 0000000036E4: D9FE0480 B8000002
	ds_read_b128 v[188:191], v2 offset:1216                    // 0000000036EC: D9FE04C0 BC000002
	s_cmp_lt_i32 s7, 2                                         // 0000000036F4: BF048207
	s_cbranch_scc0 label_0DCE                                  // 0000000036F8: BF840B8F

00000000000036fc <label_023F>:
	s_waitcnt vmcnt(8) lgkmcnt(0)                              // 0000000036FC: BF8C0078
	s_barrier                                                  // 000000003700: BF8A0000
	v_mfma_f32_16x16x32_fp8_fp8 v[128:131], a[0:1], v[160:161], v[128:131]// 000000003704: D3F30080 0E034100
	v_mfma_f32_16x16x32_fp8_fp8 v[128:131], a[2:3], v[162:163], v[128:131]// 00000000370C: D3F30080 0E034502
	buffer_load_dwordx4 a[64:67], v32, s[92:95], 0 offen       // 000000003714: E05C1000 80974020
	v_mfma_f32_16x16x32_fp8_fp8 v[128:131], a[4:5], v[164:165], v[128:131]// 00000000371C: D3F30080 0E034904
	v_mfma_f32_16x16x32_fp8_fp8 v[128:131], a[6:7], v[166:167], v[128:131]// 000000003724: D3F30080 0E034D06
	buffer_load_dword v24, s[20:23], 0 offen lds               // 00000000372C: E0511000 80050018
	s_add_u32 m0, 0x100, s51                                   // 000000003734: 807C33FF 00000100
	v_mfma_f32_16x16x32_fp8_fp8 v[128:131], a[8:9], v[168:169], v[128:131]// 00000000373C: D3F30080 0E035108
	v_mfma_f32_16x16x32_fp8_fp8 v[128:131], a[10:11], v[170:171], v[128:131]// 000000003744: D3F30080 0E03550A
	buffer_load_dwordx4 a[68:71], v32, s[92:95], 0 offen offset:1024// 00000000374C: E05C1400 80974420
	v_mfma_f32_16x16x32_fp8_fp8 v[128:131], a[12:13], v[172:173], v[128:131]// 000000003754: D3F30080 0E03590C
	v_mfma_f32_16x16x32_fp8_fp8 v[128:131], a[14:15], v[174:175], v[128:131]// 00000000375C: D3F30080 0E035D0E
	buffer_load_dword v25, s[20:23], 0 offen lds               // 000000003764: E0511000 80050019
	s_add_u32 m0, 0x200, s51                                   // 00000000376C: 807C33FF 00000200
	v_mfma_f32_16x16x32_fp8_fp8 v[132:135], a[0:1], v[176:177], v[132:135]// 000000003774: D3F30084 0E136100
	v_mfma_f32_16x16x32_fp8_fp8 v[132:135], a[2:3], v[178:179], v[132:135]// 00000000377C: D3F30084 0E136502
	buffer_load_dwordx4 a[72:75], v32, s[92:95], 0 offen offset:2048// 000000003784: E05C1800 80974820
	v_mfma_f32_16x16x32_fp8_fp8 v[132:135], a[4:5], v[180:181], v[132:135]// 00000000378C: D3F30084 0E136904
	v_mfma_f32_16x16x32_fp8_fp8 v[132:135], a[6:7], v[182:183], v[132:135]// 000000003794: D3F30084 0E136D06
	buffer_load_dword v26, s[20:23], 0 offen lds               // 00000000379C: E0511000 8005001A
	s_add_u32 m0, 0x300, s51                                   // 0000000037A4: 807C33FF 00000300
	v_mfma_f32_16x16x32_fp8_fp8 v[132:135], a[8:9], v[184:185], v[132:135]// 0000000037AC: D3F30084 0E137108
	v_mfma_f32_16x16x32_fp8_fp8 v[132:135], a[10:11], v[186:187], v[132:135]// 0000000037B4: D3F30084 0E13750A
	buffer_load_dwordx4 a[76:79], v32, s[92:95], 0 offen offset:3072// 0000000037BC: E05C1C00 80974C20
	v_mfma_f32_16x16x32_fp8_fp8 v[132:135], a[12:13], v[188:189], v[132:135]// 0000000037C4: D3F30084 0E13790C
	v_mfma_f32_16x16x32_fp8_fp8 v[132:135], a[14:15], v[190:191], v[132:135]// 0000000037CC: D3F30084 0E137D0E
	buffer_load_dword v27, s[20:23], 0 offen lds               // 0000000037D4: E0511000 8005001B
	s_add_u32 m0, 0x400, s51                                   // 0000000037DC: 807C33FF 00000400
	v_mfma_f32_16x16x32_fp8_fp8 v[136:139], a[16:17], v[160:161], v[136:139]// 0000000037E4: D3F30088 0E234110
	v_mfma_f32_16x16x32_fp8_fp8 v[136:139], a[18:19], v[162:163], v[136:139]// 0000000037EC: D3F30088 0E234512
	buffer_load_dwordx4 a[80:83], v33, s[92:95], 0 offen       // 0000000037F4: E05C1000 80975021
	v_mfma_f32_16x16x32_fp8_fp8 v[136:139], a[20:21], v[164:165], v[136:139]// 0000000037FC: D3F30088 0E234914
	v_mfma_f32_16x16x32_fp8_fp8 v[136:139], a[22:23], v[166:167], v[136:139]// 000000003804: D3F30088 0E234D16
	buffer_load_dword v28, s[20:23], 0 offen lds               // 00000000380C: E0511000 8005001C
	s_add_u32 m0, 0x500, s51                                   // 000000003814: 807C33FF 00000500
	v_mfma_f32_16x16x32_fp8_fp8 v[136:139], a[24:25], v[168:169], v[136:139]// 00000000381C: D3F30088 0E235118
	v_mfma_f32_16x16x32_fp8_fp8 v[136:139], a[26:27], v[170:171], v[136:139]// 000000003824: D3F30088 0E23551A
	buffer_load_dwordx4 a[84:87], v33, s[92:95], 0 offen offset:1024// 00000000382C: E05C1400 80975421
	v_mfma_f32_16x16x32_fp8_fp8 v[136:139], a[28:29], v[172:173], v[136:139]// 000000003834: D3F30088 0E23591C
	v_mfma_f32_16x16x32_fp8_fp8 v[136:139], a[30:31], v[174:175], v[136:139]// 00000000383C: D3F30088 0E235D1E
	buffer_load_dword v29, s[20:23], 0 offen lds               // 000000003844: E0511000 8005001D
	s_add_u32 m0, 0x600, s51                                   // 00000000384C: 807C33FF 00000600
	v_mfma_f32_16x16x32_fp8_fp8 v[140:143], a[16:17], v[176:177], v[140:143]// 000000003854: D3F3008C 0E336110
	v_mfma_f32_16x16x32_fp8_fp8 v[140:143], a[18:19], v[178:179], v[140:143]// 00000000385C: D3F3008C 0E336512
	buffer_load_dwordx4 a[88:91], v33, s[92:95], 0 offen offset:2048// 000000003864: E05C1800 80975821
	v_mfma_f32_16x16x32_fp8_fp8 v[140:143], a[20:21], v[180:181], v[140:143]// 00000000386C: D3F3008C 0E336914
	v_mfma_f32_16x16x32_fp8_fp8 v[140:143], a[22:23], v[182:183], v[140:143]// 000000003874: D3F3008C 0E336D16
	buffer_load_dword v30, s[20:23], 0 offen lds               // 00000000387C: E0511000 8005001E
	s_add_u32 m0, 0x700, s51                                   // 000000003884: 807C33FF 00000700
	v_mfma_f32_16x16x32_fp8_fp8 v[140:143], a[24:25], v[184:185], v[140:143]// 00000000388C: D3F3008C 0E337118
	v_mfma_f32_16x16x32_fp8_fp8 v[140:143], a[26:27], v[186:187], v[140:143]// 000000003894: D3F3008C 0E33751A
	buffer_load_dwordx4 a[92:95], v33, s[92:95], 0 offen offset:3072// 00000000389C: E05C1C00 80975C21
	v_mfma_f32_16x16x32_fp8_fp8 v[140:143], a[28:29], v[188:189], v[140:143]// 0000000038A4: D3F3008C 0E33791C
	v_mfma_f32_16x16x32_fp8_fp8 v[140:143], a[30:31], v[190:191], v[140:143]// 0000000038AC: D3F3008C 0E337D1E
	buffer_load_dword v31, s[20:23], 0 offen lds               // 0000000038B4: E0511000 8005001F
	s_add_u32 m0, 0, s50                                       // 0000000038BC: 807C3280
	s_waitcnt vmcnt(20)                                        // 0000000038C0: BF8C4F74
	v_mfma_f32_16x16x32_fp8_fp8 v[144:147], a[32:33], v[160:161], v[144:147]// 0000000038C4: D3F30090 0E434120
	v_mfma_f32_16x16x32_fp8_fp8 v[144:147], a[34:35], v[162:163], v[144:147]// 0000000038CC: D3F30090 0E434522
	buffer_load_dwordx4 a[96:99], v34, s[92:95], 0 offen       // 0000000038D4: E05C1000 80976022
	v_mfma_f32_16x16x32_fp8_fp8 v[144:147], a[36:37], v[164:165], v[144:147]// 0000000038DC: D3F30090 0E434924
	v_mfma_f32_16x16x32_fp8_fp8 v[144:147], a[38:39], v[166:167], v[144:147]// 0000000038E4: D3F30090 0E434D26
	v_mfma_f32_16x16x32_fp8_fp8 v[144:147], a[40:41], v[168:169], v[144:147]// 0000000038EC: D3F30090 0E435128
	v_mfma_f32_16x16x32_fp8_fp8 v[144:147], a[42:43], v[170:171], v[144:147]// 0000000038F4: D3F30090 0E43552A
	buffer_load_dwordx4 a[100:103], v34, s[92:95], 0 offen offset:1024// 0000000038FC: E05C1400 80976422
	v_mfma_f32_16x16x32_fp8_fp8 v[144:147], a[44:45], v[172:173], v[144:147]// 000000003904: D3F30090 0E43592C
	v_mfma_f32_16x16x32_fp8_fp8 v[144:147], a[46:47], v[174:175], v[144:147]// 00000000390C: D3F30090 0E435D2E
	v_mfma_f32_16x16x32_fp8_fp8 v[148:151], a[32:33], v[176:177], v[148:151]// 000000003914: D3F30094 0E536120
	v_mfma_f32_16x16x32_fp8_fp8 v[148:151], a[34:35], v[178:179], v[148:151]// 00000000391C: D3F30094 0E536522
	buffer_load_dwordx4 a[104:107], v34, s[92:95], 0 offen offset:2048// 000000003924: E05C1800 80976822
	v_mfma_f32_16x16x32_fp8_fp8 v[148:151], a[36:37], v[180:181], v[148:151]// 00000000392C: D3F30094 0E536924
	v_mfma_f32_16x16x32_fp8_fp8 v[148:151], a[38:39], v[182:183], v[148:151]// 000000003934: D3F30094 0E536D26
	v_mfma_f32_16x16x32_fp8_fp8 v[148:151], a[40:41], v[184:185], v[148:151]// 00000000393C: D3F30094 0E537128
	v_mfma_f32_16x16x32_fp8_fp8 v[148:151], a[42:43], v[186:187], v[148:151]// 000000003944: D3F30094 0E53752A
	buffer_load_dwordx4 a[108:111], v34, s[92:95], 0 offen offset:3072// 00000000394C: E05C1C00 80976C22
	v_mfma_f32_16x16x32_fp8_fp8 v[148:151], a[44:45], v[188:189], v[148:151]// 000000003954: D3F30094 0E53792C
	v_mfma_f32_16x16x32_fp8_fp8 v[148:151], a[46:47], v[190:191], v[148:151]// 00000000395C: D3F30094 0E537D2E
	s_waitcnt vmcnt(20)                                        // 000000003964: BF8C4F74
	v_mfma_f32_16x16x32_fp8_fp8 v[152:155], a[48:49], v[160:161], v[152:155]// 000000003968: D3F30098 0E634130
	v_mfma_f32_16x16x32_fp8_fp8 v[152:155], a[50:51], v[162:163], v[152:155]// 000000003970: D3F30098 0E634532
	buffer_load_dwordx4 a[112:115], v35, s[92:95], 0 offen     // 000000003978: E05C1000 80977023
	v_mfma_f32_16x16x32_fp8_fp8 v[152:155], a[52:53], v[164:165], v[152:155]// 000000003980: D3F30098 0E634934
	v_mfma_f32_16x16x32_fp8_fp8 v[152:155], a[54:55], v[166:167], v[152:155]// 000000003988: D3F30098 0E634D36
	v_mfma_f32_16x16x32_fp8_fp8 v[152:155], a[56:57], v[168:169], v[152:155]// 000000003990: D3F30098 0E635138
	v_mfma_f32_16x16x32_fp8_fp8 v[152:155], a[58:59], v[170:171], v[152:155]// 000000003998: D3F30098 0E63553A
	buffer_load_dwordx4 a[116:119], v35, s[92:95], 0 offen offset:1024// 0000000039A0: E05C1400 80977423
	v_mfma_f32_16x16x32_fp8_fp8 v[152:155], a[60:61], v[172:173], v[152:155]// 0000000039A8: D3F30098 0E63593C
	v_mfma_f32_16x16x32_fp8_fp8 v[152:155], a[62:63], v[174:175], v[152:155]// 0000000039B0: D3F30098 0E635D3E
	v_mfma_f32_16x16x32_fp8_fp8 v[156:159], a[48:49], v[176:177], v[156:159]// 0000000039B8: D3F3009C 0E736130
	v_mfma_f32_16x16x32_fp8_fp8 v[156:159], a[50:51], v[178:179], v[156:159]// 0000000039C0: D3F3009C 0E736532
	buffer_load_dwordx4 a[120:123], v35, s[92:95], 0 offen offset:2048// 0000000039C8: E05C1800 80977823
	v_mfma_f32_16x16x32_fp8_fp8 v[156:159], a[52:53], v[180:181], v[156:159]// 0000000039D0: D3F3009C 0E736934
	v_mfma_f32_16x16x32_fp8_fp8 v[156:159], a[54:55], v[182:183], v[156:159]// 0000000039D8: D3F3009C 0E736D36
	v_mfma_f32_16x16x32_fp8_fp8 v[156:159], a[56:57], v[184:185], v[156:159]// 0000000039E0: D3F3009C 0E737138
	v_mfma_f32_16x16x32_fp8_fp8 v[156:159], a[58:59], v[186:187], v[156:159]// 0000000039E8: D3F3009C 0E73753A
	buffer_load_dwordx4 a[124:127], v35, s[92:95], 0 offen offset:3072// 0000000039F0: E05C1C00 80977C23
	v_mfma_f32_16x16x32_fp8_fp8 v[156:159], a[60:61], v[188:189], v[156:159]// 0000000039F8: D3F3009C 0E73793C
	v_mfma_f32_16x16x32_fp8_fp8 v[156:159], a[62:63], v[190:191], v[156:159]// 000000003A00: D3F3009C 0E737D3E
	s_waitcnt vmcnt(8)                                         // 000000003A08: BF8C0F78
	s_barrier                                                  // 000000003A0C: BF8A0000
	v_mfma_f32_16x16x32_fp8_fp8 v[64:67], a[64:65], v[160:161], v[64:67]// 000000003A10: D3F30040 0D034140
	v_mfma_f32_16x16x32_fp8_fp8 v[64:67], a[66:67], v[162:163], v[64:67]// 000000003A18: D3F30040 0D034542
	buffer_load_dwordx4 a[0:3], v32, s[24:27], 0 offen         // 000000003A20: E05C1000 80860020
	v_mfma_f32_16x16x32_fp8_fp8 v[64:67], a[68:69], v[164:165], v[64:67]// 000000003A28: D3F30040 0D034944
	v_mfma_f32_16x16x32_fp8_fp8 v[64:67], a[70:71], v[166:167], v[64:67]// 000000003A30: D3F30040 0D034D46
	v_mfma_f32_16x16x32_fp8_fp8 v[64:67], a[72:73], v[168:169], v[64:67]// 000000003A38: D3F30040 0D035148
	v_mfma_f32_16x16x32_fp8_fp8 v[64:67], a[74:75], v[170:171], v[64:67]// 000000003A40: D3F30040 0D03554A
	buffer_load_dwordx4 a[4:7], v32, s[24:27], 0 offen offset:1024// 000000003A48: E05C1400 80860420
	v_mfma_f32_16x16x32_fp8_fp8 v[64:67], a[76:77], v[172:173], v[64:67]// 000000003A50: D3F30040 0D03594C
	v_mfma_f32_16x16x32_fp8_fp8 v[64:67], a[78:79], v[174:175], v[64:67]// 000000003A58: D3F30040 0D035D4E
	v_mfma_f32_16x16x32_fp8_fp8 v[68:71], a[64:65], v[176:177], v[68:71]// 000000003A60: D3F30044 0D136140
	v_mfma_f32_16x16x32_fp8_fp8 v[68:71], a[66:67], v[178:179], v[68:71]// 000000003A68: D3F30044 0D136542
	buffer_load_dwordx4 a[8:11], v32, s[24:27], 0 offen offset:2048// 000000003A70: E05C1800 80860820
	v_mfma_f32_16x16x32_fp8_fp8 v[68:71], a[68:69], v[180:181], v[68:71]// 000000003A78: D3F30044 0D136944
	v_mfma_f32_16x16x32_fp8_fp8 v[68:71], a[70:71], v[182:183], v[68:71]// 000000003A80: D3F30044 0D136D46
	v_mfma_f32_16x16x32_fp8_fp8 v[68:71], a[72:73], v[184:185], v[68:71]// 000000003A88: D3F30044 0D137148
	v_mfma_f32_16x16x32_fp8_fp8 v[68:71], a[74:75], v[186:187], v[68:71]// 000000003A90: D3F30044 0D13754A
	buffer_load_dwordx4 a[12:15], v32, s[24:27], 0 offen offset:3072// 000000003A98: E05C1C00 80860C20
	v_mfma_f32_16x16x32_fp8_fp8 v[68:71], a[76:77], v[188:189], v[68:71]// 000000003AA0: D3F30044 0D13794C
	v_mfma_f32_16x16x32_fp8_fp8 v[68:71], a[78:79], v[190:191], v[68:71]// 000000003AA8: D3F30044 0D137D4E
	v_mfma_f32_16x16x32_fp8_fp8 v[72:75], a[80:81], v[160:161], v[72:75]// 000000003AB0: D3F30048 0D234150
	v_mfma_f32_16x16x32_fp8_fp8 v[72:75], a[82:83], v[162:163], v[72:75]// 000000003AB8: D3F30048 0D234552
	buffer_load_dwordx4 a[16:19], v33, s[24:27], 0 offen       // 000000003AC0: E05C1000 80861021
	v_mfma_f32_16x16x32_fp8_fp8 v[72:75], a[84:85], v[164:165], v[72:75]// 000000003AC8: D3F30048 0D234954
	v_mfma_f32_16x16x32_fp8_fp8 v[72:75], a[86:87], v[166:167], v[72:75]// 000000003AD0: D3F30048 0D234D56
	v_mfma_f32_16x16x32_fp8_fp8 v[72:75], a[88:89], v[168:169], v[72:75]// 000000003AD8: D3F30048 0D235158
	v_mfma_f32_16x16x32_fp8_fp8 v[72:75], a[90:91], v[170:171], v[72:75]// 000000003AE0: D3F30048 0D23555A
	buffer_load_dwordx4 a[20:23], v33, s[24:27], 0 offen offset:1024// 000000003AE8: E05C1400 80861421
	v_mfma_f32_16x16x32_fp8_fp8 v[72:75], a[92:93], v[172:173], v[72:75]// 000000003AF0: D3F30048 0D23595C
	v_mfma_f32_16x16x32_fp8_fp8 v[72:75], a[94:95], v[174:175], v[72:75]// 000000003AF8: D3F30048 0D235D5E
	v_mfma_f32_16x16x32_fp8_fp8 v[76:79], a[80:81], v[176:177], v[76:79]// 000000003B00: D3F3004C 0D336150
	v_mfma_f32_16x16x32_fp8_fp8 v[76:79], a[82:83], v[178:179], v[76:79]// 000000003B08: D3F3004C 0D336552
	buffer_load_dwordx4 a[24:27], v33, s[24:27], 0 offen offset:2048// 000000003B10: E05C1800 80861821
	v_mfma_f32_16x16x32_fp8_fp8 v[76:79], a[84:85], v[180:181], v[76:79]// 000000003B18: D3F3004C 0D336954
	v_mfma_f32_16x16x32_fp8_fp8 v[76:79], a[86:87], v[182:183], v[76:79]// 000000003B20: D3F3004C 0D336D56
	v_mfma_f32_16x16x32_fp8_fp8 v[76:79], a[88:89], v[184:185], v[76:79]// 000000003B28: D3F3004C 0D337158
	v_mfma_f32_16x16x32_fp8_fp8 v[76:79], a[90:91], v[186:187], v[76:79]// 000000003B30: D3F3004C 0D33755A
	buffer_load_dwordx4 a[28:31], v33, s[24:27], 0 offen offset:3072// 000000003B38: E05C1C00 80861C21
	v_mfma_f32_16x16x32_fp8_fp8 v[76:79], a[92:93], v[188:189], v[76:79]// 000000003B40: D3F3004C 0D33795C
	v_mfma_f32_16x16x32_fp8_fp8 v[76:79], a[94:95], v[190:191], v[76:79]// 000000003B48: D3F3004C 0D337D5E
	s_waitcnt vmcnt(12)                                        // 000000003B50: BF8C0F7C
	v_mfma_f32_16x16x32_fp8_fp8 v[80:83], a[96:97], v[160:161], v[80:83]// 000000003B54: D3F30050 0D434160
	v_mfma_f32_16x16x32_fp8_fp8 v[80:83], a[98:99], v[162:163], v[80:83]// 000000003B5C: D3F30050 0D434562
	buffer_load_dwordx4 a[32:35], v34, s[24:27], 0 offen       // 000000003B64: E05C1000 80862022
	v_mfma_f32_16x16x32_fp8_fp8 v[80:83], a[100:101], v[164:165], v[80:83]// 000000003B6C: D3F30050 0D434964
	v_mfma_f32_16x16x32_fp8_fp8 v[80:83], a[102:103], v[166:167], v[80:83]// 000000003B74: D3F30050 0D434D66
	ds_read_b128 v[192:195], v2 offset:8320                    // 000000003B7C: D9FE2080 C0000002
	v_mfma_f32_16x16x32_fp8_fp8 v[80:83], a[104:105], v[168:169], v[80:83]// 000000003B84: D3F30050 0D435168
	v_mfma_f32_16x16x32_fp8_fp8 v[80:83], a[106:107], v[170:171], v[80:83]// 000000003B8C: D3F30050 0D43556A
	buffer_load_dwordx4 a[36:39], v34, s[24:27], 0 offen offset:1024// 000000003B94: E05C1400 80862422
	v_mfma_f32_16x16x32_fp8_fp8 v[80:83], a[108:109], v[172:173], v[80:83]// 000000003B9C: D3F30050 0D43596C
	v_mfma_f32_16x16x32_fp8_fp8 v[80:83], a[110:111], v[174:175], v[80:83]// 000000003BA4: D3F30050 0D435D6E
	ds_read_b128 v[196:199], v2 offset:8384                    // 000000003BAC: D9FE20C0 C4000002
	v_mfma_f32_16x16x32_fp8_fp8 v[84:87], a[96:97], v[176:177], v[84:87]// 000000003BB4: D3F30054 0D536160
	v_mfma_f32_16x16x32_fp8_fp8 v[84:87], a[98:99], v[178:179], v[84:87]// 000000003BBC: D3F30054 0D536562
	buffer_load_dwordx4 a[40:43], v34, s[24:27], 0 offen offset:2048// 000000003BC4: E05C1800 80862822
	v_mfma_f32_16x16x32_fp8_fp8 v[84:87], a[100:101], v[180:181], v[84:87]// 000000003BCC: D3F30054 0D536964
	v_mfma_f32_16x16x32_fp8_fp8 v[84:87], a[102:103], v[182:183], v[84:87]// 000000003BD4: D3F30054 0D536D66
	ds_read_b128 v[200:203], v2 offset:8448                    // 000000003BDC: D9FE2100 C8000002
	v_mfma_f32_16x16x32_fp8_fp8 v[84:87], a[104:105], v[184:185], v[84:87]// 000000003BE4: D3F30054 0D537168
	v_mfma_f32_16x16x32_fp8_fp8 v[84:87], a[106:107], v[186:187], v[84:87]// 000000003BEC: D3F30054 0D53756A
	buffer_load_dwordx4 a[44:47], v34, s[24:27], 0 offen offset:3072// 000000003BF4: E05C1C00 80862C22
	v_mfma_f32_16x16x32_fp8_fp8 v[84:87], a[108:109], v[188:189], v[84:87]// 000000003BFC: D3F30054 0D53796C
	v_mfma_f32_16x16x32_fp8_fp8 v[84:87], a[110:111], v[190:191], v[84:87]// 000000003C04: D3F30054 0D537D6E
	ds_read_b128 v[204:207], v2 offset:8512                    // 000000003C0C: D9FE2140 CC000002
	s_waitcnt vmcnt(12)                                        // 000000003C14: BF8C0F7C
	v_mfma_f32_16x16x32_fp8_fp8 v[88:91], a[112:113], v[160:161], v[88:91]// 000000003C18: D3F30058 0D634170
	v_mfma_f32_16x16x32_fp8_fp8 v[88:91], a[114:115], v[162:163], v[88:91]// 000000003C20: D3F30058 0D634572
	buffer_load_dwordx4 a[48:51], v35, s[24:27], 0 offen       // 000000003C28: E05C1000 80863023
	v_mfma_f32_16x16x32_fp8_fp8 v[88:91], a[116:117], v[164:165], v[88:91]// 000000003C30: D3F30058 0D634974
	v_mfma_f32_16x16x32_fp8_fp8 v[88:91], a[118:119], v[166:167], v[88:91]// 000000003C38: D3F30058 0D634D76
	ds_read_b128 v[208:211], v2 offset:9344                    // 000000003C40: D9FE2480 D0000002
	v_mfma_f32_16x16x32_fp8_fp8 v[88:91], a[120:121], v[168:169], v[88:91]// 000000003C48: D3F30058 0D635178
	v_mfma_f32_16x16x32_fp8_fp8 v[88:91], a[122:123], v[170:171], v[88:91]// 000000003C50: D3F30058 0D63557A
	buffer_load_dwordx4 a[52:55], v35, s[24:27], 0 offen offset:1024// 000000003C58: E05C1400 80863423
	v_mfma_f32_16x16x32_fp8_fp8 v[88:91], a[124:125], v[172:173], v[88:91]// 000000003C60: D3F30058 0D63597C
	v_mfma_f32_16x16x32_fp8_fp8 v[88:91], a[126:127], v[174:175], v[88:91]// 000000003C68: D3F30058 0D635D7E
	ds_read_b128 v[212:215], v2 offset:9408                    // 000000003C70: D9FE24C0 D4000002
	v_mfma_f32_16x16x32_fp8_fp8 v[92:95], a[112:113], v[176:177], v[92:95]// 000000003C78: D3F3005C 0D736170
	v_mfma_f32_16x16x32_fp8_fp8 v[92:95], a[114:115], v[178:179], v[92:95]// 000000003C80: D3F3005C 0D736572
	buffer_load_dwordx4 a[56:59], v35, s[24:27], 0 offen offset:2048// 000000003C88: E05C1800 80863823
	v_mfma_f32_16x16x32_fp8_fp8 v[92:95], a[116:117], v[180:181], v[92:95]// 000000003C90: D3F3005C 0D736974
	v_mfma_f32_16x16x32_fp8_fp8 v[92:95], a[118:119], v[182:183], v[92:95]// 000000003C98: D3F3005C 0D736D76
	ds_read_b128 v[216:219], v2 offset:9472                    // 000000003CA0: D9FE2500 D8000002
	v_mfma_f32_16x16x32_fp8_fp8 v[92:95], a[120:121], v[184:185], v[92:95]// 000000003CA8: D3F3005C 0D737178
	v_mfma_f32_16x16x32_fp8_fp8 v[92:95], a[122:123], v[186:187], v[92:95]// 000000003CB0: D3F3005C 0D73757A
	buffer_load_dwordx4 a[60:63], v35, s[24:27], 0 offen offset:3072// 000000003CB8: E05C1C00 80863C23
	v_mfma_f32_16x16x32_fp8_fp8 v[92:95], a[124:125], v[188:189], v[92:95]// 000000003CC0: D3F3005C 0D73797C
	v_mfma_f32_16x16x32_fp8_fp8 v[92:95], a[126:127], v[190:191], v[92:95]// 000000003CC8: D3F3005C 0D737D7E
	ds_read_b128 v[220:223], v2 offset:9536                    // 000000003CD0: D9FE2540 DC000002
	s_add_u32 s60, 0x200, s80                                  // 000000003CD8: 803C50FF 00000200
	s_cmp_lt_u32 s60, s81                                      // 000000003CE0: BF0A513C
	s_cselect_b32 s57, s57, 0                                  // 000000003CE4: 85398039
	s_add_u32 s60, 0x200, s80                                  // 000000003CE8: 803C50FF 00000200
	s_cmp_lt_u32 s60, s81                                      // 000000003CF0: BF0A513C
	s_cselect_b32 s58, s58, 0                                  // 000000003CF4: 853A803A
	s_add_u32 s20, s57, s20                                    // 000000003CF8: 80141439
	s_addc_u32 s21, 0, s21                                     // 000000003CFC: 82151580
	s_add_u32 s24, s58, s24                                    // 000000003D00: 8018183A
	s_addc_u32 s25, 0, s25                                     // 000000003D04: 82191980
	s_add_u32 s92, s90, s92                                    // 000000003D08: 805C5C5A
	s_addc_u32 s93, 0, s93                                     // 000000003D0C: 825D5D80
	s_addk_i32 s80, 0x100                                      // 000000003D10: B7500100
	s_cmp_lt_i32 s80, s81                                      // 000000003D14: BF045150
	s_cbranch_scc0 label_0550                                  // 000000003D18: BF840189
	s_waitcnt vmcnt(8) lgkmcnt(0)                              // 000000003D1C: BF8C0078
	s_barrier                                                  // 000000003D20: BF8A0000
	v_mfma_f32_16x16x32_fp8_fp8 v[128:131], a[0:1], v[192:193], v[128:131]// 000000003D24: D3F30080 0E038100
	v_mfma_f32_16x16x32_fp8_fp8 v[128:131], a[2:3], v[194:195], v[128:131]// 000000003D2C: D3F30080 0E038502
	buffer_load_dwordx4 a[64:67], v32, s[92:95], 0 offen       // 000000003D34: E05C1000 80974020
	v_mfma_f32_16x16x32_fp8_fp8 v[128:131], a[4:5], v[196:197], v[128:131]// 000000003D3C: D3F30080 0E038904
	v_mfma_f32_16x16x32_fp8_fp8 v[128:131], a[6:7], v[198:199], v[128:131]// 000000003D44: D3F30080 0E038D06
	buffer_load_dword v24, s[20:23], 0 offen lds               // 000000003D4C: E0511000 80050018
	s_add_u32 m0, 0x100, s50                                   // 000000003D54: 807C32FF 00000100
	v_mfma_f32_16x16x32_fp8_fp8 v[128:131], a[8:9], v[200:201], v[128:131]// 000000003D5C: D3F30080 0E039108
	v_mfma_f32_16x16x32_fp8_fp8 v[128:131], a[10:11], v[202:203], v[128:131]// 000000003D64: D3F30080 0E03950A
	buffer_load_dwordx4 a[68:71], v32, s[92:95], 0 offen offset:1024// 000000003D6C: E05C1400 80974420
	v_mfma_f32_16x16x32_fp8_fp8 v[128:131], a[12:13], v[204:205], v[128:131]// 000000003D74: D3F30080 0E03990C
	v_mfma_f32_16x16x32_fp8_fp8 v[128:131], a[14:15], v[206:207], v[128:131]// 000000003D7C: D3F30080 0E039D0E
	buffer_load_dword v25, s[20:23], 0 offen lds               // 000000003D84: E0511000 80050019
	s_add_u32 m0, 0x200, s50                                   // 000000003D8C: 807C32FF 00000200
	v_mfma_f32_16x16x32_fp8_fp8 v[132:135], a[0:1], v[208:209], v[132:135]// 000000003D94: D3F30084 0E13A100
	v_mfma_f32_16x16x32_fp8_fp8 v[132:135], a[2:3], v[210:211], v[132:135]// 000000003D9C: D3F30084 0E13A502
	buffer_load_dwordx4 a[72:75], v32, s[92:95], 0 offen offset:2048// 000000003DA4: E05C1800 80974820
	v_mfma_f32_16x16x32_fp8_fp8 v[132:135], a[4:5], v[212:213], v[132:135]// 000000003DAC: D3F30084 0E13A904
	v_mfma_f32_16x16x32_fp8_fp8 v[132:135], a[6:7], v[214:215], v[132:135]// 000000003DB4: D3F30084 0E13AD06
	buffer_load_dword v26, s[20:23], 0 offen lds               // 000000003DBC: E0511000 8005001A
	s_add_u32 m0, 0x300, s50                                   // 000000003DC4: 807C32FF 00000300
	v_mfma_f32_16x16x32_fp8_fp8 v[132:135], a[8:9], v[216:217], v[132:135]// 000000003DCC: D3F30084 0E13B108
	v_mfma_f32_16x16x32_fp8_fp8 v[132:135], a[10:11], v[218:219], v[132:135]// 000000003DD4: D3F30084 0E13B50A
	buffer_load_dwordx4 a[76:79], v32, s[92:95], 0 offen offset:3072// 000000003DDC: E05C1C00 80974C20
	v_mfma_f32_16x16x32_fp8_fp8 v[132:135], a[12:13], v[220:221], v[132:135]// 000000003DE4: D3F30084 0E13B90C
	v_mfma_f32_16x16x32_fp8_fp8 v[132:135], a[14:15], v[222:223], v[132:135]// 000000003DEC: D3F30084 0E13BD0E
	buffer_load_dword v27, s[20:23], 0 offen lds               // 000000003DF4: E0511000 8005001B
	s_add_u32 m0, 0x400, s50                                   // 000000003DFC: 807C32FF 00000400
	v_mfma_f32_16x16x32_fp8_fp8 v[136:139], a[16:17], v[192:193], v[136:139]// 000000003E04: D3F30088 0E238110
	v_mfma_f32_16x16x32_fp8_fp8 v[136:139], a[18:19], v[194:195], v[136:139]// 000000003E0C: D3F30088 0E238512
	buffer_load_dwordx4 a[80:83], v33, s[92:95], 0 offen       // 000000003E14: E05C1000 80975021
	v_mfma_f32_16x16x32_fp8_fp8 v[136:139], a[20:21], v[196:197], v[136:139]// 000000003E1C: D3F30088 0E238914
	v_mfma_f32_16x16x32_fp8_fp8 v[136:139], a[22:23], v[198:199], v[136:139]// 000000003E24: D3F30088 0E238D16
	buffer_load_dword v28, s[20:23], 0 offen lds               // 000000003E2C: E0511000 8005001C
	s_add_u32 m0, 0x500, s50                                   // 000000003E34: 807C32FF 00000500
	v_mfma_f32_16x16x32_fp8_fp8 v[136:139], a[24:25], v[200:201], v[136:139]// 000000003E3C: D3F30088 0E239118
	v_mfma_f32_16x16x32_fp8_fp8 v[136:139], a[26:27], v[202:203], v[136:139]// 000000003E44: D3F30088 0E23951A
	buffer_load_dwordx4 a[84:87], v33, s[92:95], 0 offen offset:1024// 000000003E4C: E05C1400 80975421
	v_mfma_f32_16x16x32_fp8_fp8 v[136:139], a[28:29], v[204:205], v[136:139]// 000000003E54: D3F30088 0E23991C
	v_mfma_f32_16x16x32_fp8_fp8 v[136:139], a[30:31], v[206:207], v[136:139]// 000000003E5C: D3F30088 0E239D1E
	buffer_load_dword v29, s[20:23], 0 offen lds               // 000000003E64: E0511000 8005001D
	s_add_u32 m0, 0x600, s50                                   // 000000003E6C: 807C32FF 00000600
	v_mfma_f32_16x16x32_fp8_fp8 v[140:143], a[16:17], v[208:209], v[140:143]// 000000003E74: D3F3008C 0E33A110
	v_mfma_f32_16x16x32_fp8_fp8 v[140:143], a[18:19], v[210:211], v[140:143]// 000000003E7C: D3F3008C 0E33A512
	buffer_load_dwordx4 a[88:91], v33, s[92:95], 0 offen offset:2048// 000000003E84: E05C1800 80975821
	v_mfma_f32_16x16x32_fp8_fp8 v[140:143], a[20:21], v[212:213], v[140:143]// 000000003E8C: D3F3008C 0E33A914
	v_mfma_f32_16x16x32_fp8_fp8 v[140:143], a[22:23], v[214:215], v[140:143]// 000000003E94: D3F3008C 0E33AD16
	buffer_load_dword v30, s[20:23], 0 offen lds               // 000000003E9C: E0511000 8005001E
	s_add_u32 m0, 0x700, s50                                   // 000000003EA4: 807C32FF 00000700
	v_mfma_f32_16x16x32_fp8_fp8 v[140:143], a[24:25], v[216:217], v[140:143]// 000000003EAC: D3F3008C 0E33B118
	v_mfma_f32_16x16x32_fp8_fp8 v[140:143], a[26:27], v[218:219], v[140:143]// 000000003EB4: D3F3008C 0E33B51A
	buffer_load_dwordx4 a[92:95], v33, s[92:95], 0 offen offset:3072// 000000003EBC: E05C1C00 80975C21
	v_mfma_f32_16x16x32_fp8_fp8 v[140:143], a[28:29], v[220:221], v[140:143]// 000000003EC4: D3F3008C 0E33B91C
	v_mfma_f32_16x16x32_fp8_fp8 v[140:143], a[30:31], v[222:223], v[140:143]// 000000003ECC: D3F3008C 0E33BD1E
	buffer_load_dword v31, s[20:23], 0 offen lds               // 000000003ED4: E0511000 8005001F
	s_add_u32 m0, 0, s51                                       // 000000003EDC: 807C3380
	s_waitcnt vmcnt(20)                                        // 000000003EE0: BF8C4F74
	v_mfma_f32_16x16x32_fp8_fp8 v[144:147], a[32:33], v[192:193], v[144:147]// 000000003EE4: D3F30090 0E438120
	v_mfma_f32_16x16x32_fp8_fp8 v[144:147], a[34:35], v[194:195], v[144:147]// 000000003EEC: D3F30090 0E438522
	buffer_load_dwordx4 a[96:99], v34, s[92:95], 0 offen       // 000000003EF4: E05C1000 80976022
	v_mfma_f32_16x16x32_fp8_fp8 v[144:147], a[36:37], v[196:197], v[144:147]// 000000003EFC: D3F30090 0E438924
	v_mfma_f32_16x16x32_fp8_fp8 v[144:147], a[38:39], v[198:199], v[144:147]// 000000003F04: D3F30090 0E438D26
	v_mfma_f32_16x16x32_fp8_fp8 v[144:147], a[40:41], v[200:201], v[144:147]// 000000003F0C: D3F30090 0E439128
	v_mfma_f32_16x16x32_fp8_fp8 v[144:147], a[42:43], v[202:203], v[144:147]// 000000003F14: D3F30090 0E43952A
	buffer_load_dwordx4 a[100:103], v34, s[92:95], 0 offen offset:1024// 000000003F1C: E05C1400 80976422
	v_mfma_f32_16x16x32_fp8_fp8 v[144:147], a[44:45], v[204:205], v[144:147]// 000000003F24: D3F30090 0E43992C
	v_mfma_f32_16x16x32_fp8_fp8 v[144:147], a[46:47], v[206:207], v[144:147]// 000000003F2C: D3F30090 0E439D2E
	v_mfma_f32_16x16x32_fp8_fp8 v[148:151], a[32:33], v[208:209], v[148:151]// 000000003F34: D3F30094 0E53A120
	v_mfma_f32_16x16x32_fp8_fp8 v[148:151], a[34:35], v[210:211], v[148:151]// 000000003F3C: D3F30094 0E53A522
	buffer_load_dwordx4 a[104:107], v34, s[92:95], 0 offen offset:2048// 000000003F44: E05C1800 80976822
	v_mfma_f32_16x16x32_fp8_fp8 v[148:151], a[36:37], v[212:213], v[148:151]// 000000003F4C: D3F30094 0E53A924
	v_mfma_f32_16x16x32_fp8_fp8 v[148:151], a[38:39], v[214:215], v[148:151]// 000000003F54: D3F30094 0E53AD26
	v_mfma_f32_16x16x32_fp8_fp8 v[148:151], a[40:41], v[216:217], v[148:151]// 000000003F5C: D3F30094 0E53B128
	v_mfma_f32_16x16x32_fp8_fp8 v[148:151], a[42:43], v[218:219], v[148:151]// 000000003F64: D3F30094 0E53B52A
	buffer_load_dwordx4 a[108:111], v34, s[92:95], 0 offen offset:3072// 000000003F6C: E05C1C00 80976C22
	v_mfma_f32_16x16x32_fp8_fp8 v[148:151], a[44:45], v[220:221], v[148:151]// 000000003F74: D3F30094 0E53B92C
	v_mfma_f32_16x16x32_fp8_fp8 v[148:151], a[46:47], v[222:223], v[148:151]// 000000003F7C: D3F30094 0E53BD2E
	s_waitcnt vmcnt(20)                                        // 000000003F84: BF8C4F74
	v_mfma_f32_16x16x32_fp8_fp8 v[152:155], a[48:49], v[192:193], v[152:155]// 000000003F88: D3F30098 0E638130
	v_mfma_f32_16x16x32_fp8_fp8 v[152:155], a[50:51], v[194:195], v[152:155]// 000000003F90: D3F30098 0E638532
	buffer_load_dwordx4 a[112:115], v35, s[92:95], 0 offen     // 000000003F98: E05C1000 80977023
	v_mfma_f32_16x16x32_fp8_fp8 v[152:155], a[52:53], v[196:197], v[152:155]// 000000003FA0: D3F30098 0E638934
	v_mfma_f32_16x16x32_fp8_fp8 v[152:155], a[54:55], v[198:199], v[152:155]// 000000003FA8: D3F30098 0E638D36
	v_mfma_f32_16x16x32_fp8_fp8 v[152:155], a[56:57], v[200:201], v[152:155]// 000000003FB0: D3F30098 0E639138
	v_mfma_f32_16x16x32_fp8_fp8 v[152:155], a[58:59], v[202:203], v[152:155]// 000000003FB8: D3F30098 0E63953A
	buffer_load_dwordx4 a[116:119], v35, s[92:95], 0 offen offset:1024// 000000003FC0: E05C1400 80977423
	v_mfma_f32_16x16x32_fp8_fp8 v[152:155], a[60:61], v[204:205], v[152:155]// 000000003FC8: D3F30098 0E63993C
	v_mfma_f32_16x16x32_fp8_fp8 v[152:155], a[62:63], v[206:207], v[152:155]// 000000003FD0: D3F30098 0E639D3E
	v_mfma_f32_16x16x32_fp8_fp8 v[156:159], a[48:49], v[208:209], v[156:159]// 000000003FD8: D3F3009C 0E73A130
	v_mfma_f32_16x16x32_fp8_fp8 v[156:159], a[50:51], v[210:211], v[156:159]// 000000003FE0: D3F3009C 0E73A532
	buffer_load_dwordx4 a[120:123], v35, s[92:95], 0 offen offset:2048// 000000003FE8: E05C1800 80977823
	v_mfma_f32_16x16x32_fp8_fp8 v[156:159], a[52:53], v[212:213], v[156:159]// 000000003FF0: D3F3009C 0E73A934
	v_mfma_f32_16x16x32_fp8_fp8 v[156:159], a[54:55], v[214:215], v[156:159]// 000000003FF8: D3F3009C 0E73AD36
	v_mfma_f32_16x16x32_fp8_fp8 v[156:159], a[56:57], v[216:217], v[156:159]// 000000004000: D3F3009C 0E73B138
	v_mfma_f32_16x16x32_fp8_fp8 v[156:159], a[58:59], v[218:219], v[156:159]// 000000004008: D3F3009C 0E73B53A
	buffer_load_dwordx4 a[124:127], v35, s[92:95], 0 offen offset:3072// 000000004010: E05C1C00 80977C23
	v_mfma_f32_16x16x32_fp8_fp8 v[156:159], a[60:61], v[220:221], v[156:159]// 000000004018: D3F3009C 0E73B93C
	v_mfma_f32_16x16x32_fp8_fp8 v[156:159], a[62:63], v[222:223], v[156:159]// 000000004020: D3F3009C 0E73BD3E
	s_waitcnt vmcnt(8)                                         // 000000004028: BF8C0F78
	s_barrier                                                  // 00000000402C: BF8A0000
	v_mfma_f32_16x16x32_fp8_fp8 v[64:67], a[64:65], v[192:193], v[64:67]// 000000004030: D3F30040 0D038140
	v_mfma_f32_16x16x32_fp8_fp8 v[64:67], a[66:67], v[194:195], v[64:67]// 000000004038: D3F30040 0D038542
	buffer_load_dwordx4 a[0:3], v32, s[24:27], 0 offen         // 000000004040: E05C1000 80860020
	v_mfma_f32_16x16x32_fp8_fp8 v[64:67], a[68:69], v[196:197], v[64:67]// 000000004048: D3F30040 0D038944
	v_mfma_f32_16x16x32_fp8_fp8 v[64:67], a[70:71], v[198:199], v[64:67]// 000000004050: D3F30040 0D038D46
	v_mfma_f32_16x16x32_fp8_fp8 v[64:67], a[72:73], v[200:201], v[64:67]// 000000004058: D3F30040 0D039148
	v_mfma_f32_16x16x32_fp8_fp8 v[64:67], a[74:75], v[202:203], v[64:67]// 000000004060: D3F30040 0D03954A
	buffer_load_dwordx4 a[4:7], v32, s[24:27], 0 offen offset:1024// 000000004068: E05C1400 80860420
	v_mfma_f32_16x16x32_fp8_fp8 v[64:67], a[76:77], v[204:205], v[64:67]// 000000004070: D3F30040 0D03994C
	v_mfma_f32_16x16x32_fp8_fp8 v[64:67], a[78:79], v[206:207], v[64:67]// 000000004078: D3F30040 0D039D4E
	v_mfma_f32_16x16x32_fp8_fp8 v[68:71], a[64:65], v[208:209], v[68:71]// 000000004080: D3F30044 0D13A140
	v_mfma_f32_16x16x32_fp8_fp8 v[68:71], a[66:67], v[210:211], v[68:71]// 000000004088: D3F30044 0D13A542
	buffer_load_dwordx4 a[8:11], v32, s[24:27], 0 offen offset:2048// 000000004090: E05C1800 80860820
	v_mfma_f32_16x16x32_fp8_fp8 v[68:71], a[68:69], v[212:213], v[68:71]// 000000004098: D3F30044 0D13A944
	v_mfma_f32_16x16x32_fp8_fp8 v[68:71], a[70:71], v[214:215], v[68:71]// 0000000040A0: D3F30044 0D13AD46
	v_mfma_f32_16x16x32_fp8_fp8 v[68:71], a[72:73], v[216:217], v[68:71]// 0000000040A8: D3F30044 0D13B148
	v_mfma_f32_16x16x32_fp8_fp8 v[68:71], a[74:75], v[218:219], v[68:71]// 0000000040B0: D3F30044 0D13B54A
	buffer_load_dwordx4 a[12:15], v32, s[24:27], 0 offen offset:3072// 0000000040B8: E05C1C00 80860C20
	v_mfma_f32_16x16x32_fp8_fp8 v[68:71], a[76:77], v[220:221], v[68:71]// 0000000040C0: D3F30044 0D13B94C
	v_mfma_f32_16x16x32_fp8_fp8 v[68:71], a[78:79], v[222:223], v[68:71]// 0000000040C8: D3F30044 0D13BD4E
	v_mfma_f32_16x16x32_fp8_fp8 v[72:75], a[80:81], v[192:193], v[72:75]// 0000000040D0: D3F30048 0D238150
	v_mfma_f32_16x16x32_fp8_fp8 v[72:75], a[82:83], v[194:195], v[72:75]// 0000000040D8: D3F30048 0D238552
	buffer_load_dwordx4 a[16:19], v33, s[24:27], 0 offen       // 0000000040E0: E05C1000 80861021
	v_mfma_f32_16x16x32_fp8_fp8 v[72:75], a[84:85], v[196:197], v[72:75]// 0000000040E8: D3F30048 0D238954
	v_mfma_f32_16x16x32_fp8_fp8 v[72:75], a[86:87], v[198:199], v[72:75]// 0000000040F0: D3F30048 0D238D56
	v_mfma_f32_16x16x32_fp8_fp8 v[72:75], a[88:89], v[200:201], v[72:75]// 0000000040F8: D3F30048 0D239158
	v_mfma_f32_16x16x32_fp8_fp8 v[72:75], a[90:91], v[202:203], v[72:75]// 000000004100: D3F30048 0D23955A
	buffer_load_dwordx4 a[20:23], v33, s[24:27], 0 offen offset:1024// 000000004108: E05C1400 80861421
	v_mfma_f32_16x16x32_fp8_fp8 v[72:75], a[92:93], v[204:205], v[72:75]// 000000004110: D3F30048 0D23995C
	v_mfma_f32_16x16x32_fp8_fp8 v[72:75], a[94:95], v[206:207], v[72:75]// 000000004118: D3F30048 0D239D5E
	v_mfma_f32_16x16x32_fp8_fp8 v[76:79], a[80:81], v[208:209], v[76:79]// 000000004120: D3F3004C 0D33A150
	v_mfma_f32_16x16x32_fp8_fp8 v[76:79], a[82:83], v[210:211], v[76:79]// 000000004128: D3F3004C 0D33A552
	buffer_load_dwordx4 a[24:27], v33, s[24:27], 0 offen offset:2048// 000000004130: E05C1800 80861821
	v_mfma_f32_16x16x32_fp8_fp8 v[76:79], a[84:85], v[212:213], v[76:79]// 000000004138: D3F3004C 0D33A954
	v_mfma_f32_16x16x32_fp8_fp8 v[76:79], a[86:87], v[214:215], v[76:79]// 000000004140: D3F3004C 0D33AD56
	v_mfma_f32_16x16x32_fp8_fp8 v[76:79], a[88:89], v[216:217], v[76:79]// 000000004148: D3F3004C 0D33B158
	v_mfma_f32_16x16x32_fp8_fp8 v[76:79], a[90:91], v[218:219], v[76:79]// 000000004150: D3F3004C 0D33B55A
	buffer_load_dwordx4 a[28:31], v33, s[24:27], 0 offen offset:3072// 000000004158: E05C1C00 80861C21
	v_mfma_f32_16x16x32_fp8_fp8 v[76:79], a[92:93], v[220:221], v[76:79]// 000000004160: D3F3004C 0D33B95C
	v_mfma_f32_16x16x32_fp8_fp8 v[76:79], a[94:95], v[222:223], v[76:79]// 000000004168: D3F3004C 0D33BD5E
	s_waitcnt vmcnt(12)                                        // 000000004170: BF8C0F7C
	v_mfma_f32_16x16x32_fp8_fp8 v[80:83], a[96:97], v[192:193], v[80:83]// 000000004174: D3F30050 0D438160
	v_mfma_f32_16x16x32_fp8_fp8 v[80:83], a[98:99], v[194:195], v[80:83]// 00000000417C: D3F30050 0D438562
	buffer_load_dwordx4 a[32:35], v34, s[24:27], 0 offen       // 000000004184: E05C1000 80862022
	v_mfma_f32_16x16x32_fp8_fp8 v[80:83], a[100:101], v[196:197], v[80:83]// 00000000418C: D3F30050 0D438964
	v_mfma_f32_16x16x32_fp8_fp8 v[80:83], a[102:103], v[198:199], v[80:83]// 000000004194: D3F30050 0D438D66
	ds_read_b128 v[160:163], v2                                // 00000000419C: D9FE0000 A0000002
	v_mfma_f32_16x16x32_fp8_fp8 v[80:83], a[104:105], v[200:201], v[80:83]// 0000000041A4: D3F30050 0D439168
	v_mfma_f32_16x16x32_fp8_fp8 v[80:83], a[106:107], v[202:203], v[80:83]// 0000000041AC: D3F30050 0D43956A
	buffer_load_dwordx4 a[36:39], v34, s[24:27], 0 offen offset:1024// 0000000041B4: E05C1400 80862422
	v_mfma_f32_16x16x32_fp8_fp8 v[80:83], a[108:109], v[204:205], v[80:83]// 0000000041BC: D3F30050 0D43996C
	v_mfma_f32_16x16x32_fp8_fp8 v[80:83], a[110:111], v[206:207], v[80:83]// 0000000041C4: D3F30050 0D439D6E
	ds_read_b128 v[164:167], v2 offset:64                      // 0000000041CC: D9FE0040 A4000002
	v_mfma_f32_16x16x32_fp8_fp8 v[84:87], a[96:97], v[208:209], v[84:87]// 0000000041D4: D3F30054 0D53A160
	v_mfma_f32_16x16x32_fp8_fp8 v[84:87], a[98:99], v[210:211], v[84:87]// 0000000041DC: D3F30054 0D53A562
	buffer_load_dwordx4 a[40:43], v34, s[24:27], 0 offen offset:2048// 0000000041E4: E05C1800 80862822
	v_mfma_f32_16x16x32_fp8_fp8 v[84:87], a[100:101], v[212:213], v[84:87]// 0000000041EC: D3F30054 0D53A964
	v_mfma_f32_16x16x32_fp8_fp8 v[84:87], a[102:103], v[214:215], v[84:87]// 0000000041F4: D3F30054 0D53AD66
	ds_read_b128 v[168:171], v2 offset:128                     // 0000000041FC: D9FE0080 A8000002
	v_mfma_f32_16x16x32_fp8_fp8 v[84:87], a[104:105], v[216:217], v[84:87]// 000000004204: D3F30054 0D53B168
	v_mfma_f32_16x16x32_fp8_fp8 v[84:87], a[106:107], v[218:219], v[84:87]// 00000000420C: D3F30054 0D53B56A
	buffer_load_dwordx4 a[44:47], v34, s[24:27], 0 offen offset:3072// 000000004214: E05C1C00 80862C22
	v_mfma_f32_16x16x32_fp8_fp8 v[84:87], a[108:109], v[220:221], v[84:87]// 00000000421C: D3F30054 0D53B96C
	v_mfma_f32_16x16x32_fp8_fp8 v[84:87], a[110:111], v[222:223], v[84:87]// 000000004224: D3F30054 0D53BD6E
	ds_read_b128 v[172:175], v2 offset:192                     // 00000000422C: D9FE00C0 AC000002
	s_waitcnt vmcnt(12)                                        // 000000004234: BF8C0F7C
	v_mfma_f32_16x16x32_fp8_fp8 v[88:91], a[112:113], v[192:193], v[88:91]// 000000004238: D3F30058 0D638170
	v_mfma_f32_16x16x32_fp8_fp8 v[88:91], a[114:115], v[194:195], v[88:91]// 000000004240: D3F30058 0D638572
	buffer_load_dwordx4 a[48:51], v35, s[24:27], 0 offen       // 000000004248: E05C1000 80863023
	v_mfma_f32_16x16x32_fp8_fp8 v[88:91], a[116:117], v[196:197], v[88:91]// 000000004250: D3F30058 0D638974
	v_mfma_f32_16x16x32_fp8_fp8 v[88:91], a[118:119], v[198:199], v[88:91]// 000000004258: D3F30058 0D638D76
	ds_read_b128 v[176:179], v2 offset:1024                    // 000000004260: D9FE0400 B0000002
	v_mfma_f32_16x16x32_fp8_fp8 v[88:91], a[120:121], v[200:201], v[88:91]// 000000004268: D3F30058 0D639178
	v_mfma_f32_16x16x32_fp8_fp8 v[88:91], a[122:123], v[202:203], v[88:91]// 000000004270: D3F30058 0D63957A
	buffer_load_dwordx4 a[52:55], v35, s[24:27], 0 offen offset:1024// 000000004278: E05C1400 80863423
	v_mfma_f32_16x16x32_fp8_fp8 v[88:91], a[124:125], v[204:205], v[88:91]// 000000004280: D3F30058 0D63997C
	v_mfma_f32_16x16x32_fp8_fp8 v[88:91], a[126:127], v[206:207], v[88:91]// 000000004288: D3F30058 0D639D7E
	ds_read_b128 v[180:183], v2 offset:1088                    // 000000004290: D9FE0440 B4000002
	v_mfma_f32_16x16x32_fp8_fp8 v[92:95], a[112:113], v[208:209], v[92:95]// 000000004298: D3F3005C 0D73A170
	v_mfma_f32_16x16x32_fp8_fp8 v[92:95], a[114:115], v[210:211], v[92:95]// 0000000042A0: D3F3005C 0D73A572
	buffer_load_dwordx4 a[56:59], v35, s[24:27], 0 offen offset:2048// 0000000042A8: E05C1800 80863823
	v_mfma_f32_16x16x32_fp8_fp8 v[92:95], a[116:117], v[212:213], v[92:95]// 0000000042B0: D3F3005C 0D73A974
	v_mfma_f32_16x16x32_fp8_fp8 v[92:95], a[118:119], v[214:215], v[92:95]// 0000000042B8: D3F3005C 0D73AD76
	ds_read_b128 v[184:187], v2 offset:1152                    // 0000000042C0: D9FE0480 B8000002
	v_mfma_f32_16x16x32_fp8_fp8 v[92:95], a[120:121], v[216:217], v[92:95]// 0000000042C8: D3F3005C 0D73B178
	v_mfma_f32_16x16x32_fp8_fp8 v[92:95], a[122:123], v[218:219], v[92:95]// 0000000042D0: D3F3005C 0D73B57A
	buffer_load_dwordx4 a[60:63], v35, s[24:27], 0 offen offset:3072// 0000000042D8: E05C1C00 80863C23
	v_mfma_f32_16x16x32_fp8_fp8 v[92:95], a[124:125], v[220:221], v[92:95]// 0000000042E0: D3F3005C 0D73B97C
	v_mfma_f32_16x16x32_fp8_fp8 v[92:95], a[126:127], v[222:223], v[92:95]// 0000000042E8: D3F3005C 0D73BD7E
	ds_read_b128 v[188:191], v2 offset:1216                    // 0000000042F0: D9FE04C0 BC000002
	s_add_u32 s60, 0x200, s80                                  // 0000000042F8: 803C50FF 00000200
	s_cmp_lt_u32 s60, s81                                      // 000000004300: BF0A513C
	s_cselect_b32 s57, s57, 0                                  // 000000004304: 85398039
	s_add_u32 s60, 0x200, s80                                  // 000000004308: 803C50FF 00000200
	s_cmp_lt_u32 s60, s81                                      // 000000004310: BF0A513C
	s_cselect_b32 s58, s58, 0                                  // 000000004314: 853A803A
	s_add_u32 s20, s57, s20                                    // 000000004318: 80141439
	s_addc_u32 s21, 0, s21                                     // 00000000431C: 82151580
	s_add_u32 s24, s58, s24                                    // 000000004320: 8018183A
	s_addc_u32 s25, 0, s25                                     // 000000004324: 82191980
	s_add_u32 s92, s90, s92                                    // 000000004328: 805C5C5A
	s_addc_u32 s93, 0, s93                                     // 00000000432C: 825D5D80
	s_addk_i32 s80, 0x100                                      // 000000004330: B7500100
	s_cmp_lt_i32 s80, s81                                      // 000000004334: BF045150
	s_cbranch_scc0 label_0550                                  // 000000004338: BF840001
	s_branch label_023F                                        // 00000000433C: BF82FCEF

0000000000004340 <label_0550>:
	s_mov_b32 s20, 0                                           // 000000004340: BE940080
	s_cmp_lt_u32 s89, s66                                      // 000000004344: BF0A4259
	s_cselect_b32 s60, 0, 1                                    // 000000004348: 853C8180
	s_lshl1_add_u32 s20, s20, s60                              // 00000000434C: 97143C14
	s_cmp_lt_u32 s88, s66                                      // 000000004350: BF0A4258
	s_cselect_b32 s60, 0, 1                                    // 000000004354: 853C8180
	s_lshl1_add_u32 s20, s20, s60                              // 000000004358: 97143C14
	s_cmp_lt_u32 s87, s66                                      // 00000000435C: BF0A4257
	s_cselect_b32 s60, 0, 1                                    // 000000004360: 853C8180
	s_lshl1_add_u32 s20, s20, s60                              // 000000004364: 97143C14
	s_cmp_lt_u32 s86, s66                                      // 000000004368: BF0A4256
	s_cselect_b32 s60, 0, 1                                    // 00000000436C: 853C8180
	s_lshl1_add_u32 s20, s20, s60                              // 000000004370: 97143C14
	s_cmp_lt_u32 s85, s66                                      // 000000004374: BF0A4255
	s_cselect_b32 s60, 0, 1                                    // 000000004378: 853C8180
	s_lshl1_add_u32 s20, s20, s60                              // 00000000437C: 97143C14
	s_cmp_lt_u32 s84, s66                                      // 000000004380: BF0A4254
	s_cselect_b32 s60, 0, 1                                    // 000000004384: 853C8180
	s_lshl1_add_u32 s20, s20, s60                              // 000000004388: 97143C14
	s_cmp_lt_u32 s83, s66                                      // 00000000438C: BF0A4253
	s_cselect_b32 s60, 0, 1                                    // 000000004390: 853C8180
	s_lshl1_add_u32 s20, s20, s60                              // 000000004394: 97143C14
	s_cmp_lt_u32 s82, s66                                      // 000000004398: BF0A4252
	s_cselect_b32 s60, 0, 1                                    // 00000000439C: 853C8180
	s_lshl1_add_u32 s20, s20, s60                              // 0000000043A0: 97143C14
	v_mul_f32_e32 v128, v13, v128                              // 0000000043A4: 0B01010D
	v_mul_f32_e32 v129, v13, v129                              // 0000000043A8: 0B03030D
	v_mul_f32_e32 v130, v13, v130                              // 0000000043AC: 0B05050D
	v_mul_f32_e32 v131, v13, v131                              // 0000000043B0: 0B07070D
	v_mul_f32_dpp v128, v15, v128 row_newbcast:0 row_mask:0xf bank_mask:0xf// 0000000043B4: 0B0100FA FF01500F
	v_mul_f32_dpp v129, v15, v129 row_newbcast:1 row_mask:0xf bank_mask:0xf// 0000000043BC: 0B0302FA FF01510F
	v_mul_f32_dpp v130, v15, v130 row_newbcast:2 row_mask:0xf bank_mask:0xf// 0000000043C4: 0B0504FA FF01520F
	v_mul_f32_dpp v131, v15, v131 row_newbcast:3 row_mask:0xf bank_mask:0xf// 0000000043CC: 0B0706FA FF01530F
	v_mul_f32_e32 v132, v14, v132                              // 0000000043D4: 0B09090E
	v_mul_f32_e32 v133, v14, v133                              // 0000000043D8: 0B0B0B0E
	v_mul_f32_e32 v134, v14, v134                              // 0000000043DC: 0B0D0D0E
	v_mul_f32_e32 v135, v14, v135                              // 0000000043E0: 0B0F0F0E
	v_mul_f32_dpp v132, v15, v132 row_newbcast:0 row_mask:0xf bank_mask:0xf// 0000000043E4: 0B0908FA FF01500F
	v_mul_f32_dpp v133, v15, v133 row_newbcast:1 row_mask:0xf bank_mask:0xf// 0000000043EC: 0B0B0AFA FF01510F
	v_mul_f32_dpp v134, v15, v134 row_newbcast:2 row_mask:0xf bank_mask:0xf// 0000000043F4: 0B0D0CFA FF01520F
	v_mul_f32_dpp v135, v15, v135 row_newbcast:3 row_mask:0xf bank_mask:0xf// 0000000043FC: 0B0F0EFA FF01530F
	v_mul_f32_e32 v136, v13, v136                              // 000000004404: 0B11110D
	v_mul_f32_e32 v137, v13, v137                              // 000000004408: 0B13130D
	v_mul_f32_e32 v138, v13, v138                              // 00000000440C: 0B15150D
	v_mul_f32_e32 v139, v13, v139                              // 000000004410: 0B17170D
	v_mul_f32_dpp v136, v15, v136 row_newbcast:4 row_mask:0xf bank_mask:0xf// 000000004414: 0B1110FA FF01540F
	v_mul_f32_dpp v137, v15, v137 row_newbcast:5 row_mask:0xf bank_mask:0xf// 00000000441C: 0B1312FA FF01550F
	v_mul_f32_dpp v138, v15, v138 row_newbcast:6 row_mask:0xf bank_mask:0xf// 000000004424: 0B1514FA FF01560F
	v_mul_f32_dpp v139, v15, v139 row_newbcast:7 row_mask:0xf bank_mask:0xf// 00000000442C: 0B1716FA FF01570F
	v_mul_f32_e32 v140, v14, v140                              // 000000004434: 0B19190E
	v_mul_f32_e32 v141, v14, v141                              // 000000004438: 0B1B1B0E
	v_mul_f32_e32 v142, v14, v142                              // 00000000443C: 0B1D1D0E
	v_mul_f32_e32 v143, v14, v143                              // 000000004440: 0B1F1F0E
	v_mul_f32_dpp v140, v15, v140 row_newbcast:4 row_mask:0xf bank_mask:0xf// 000000004444: 0B1918FA FF01540F
	v_mul_f32_dpp v141, v15, v141 row_newbcast:5 row_mask:0xf bank_mask:0xf// 00000000444C: 0B1B1AFA FF01550F
	v_mul_f32_dpp v142, v15, v142 row_newbcast:6 row_mask:0xf bank_mask:0xf// 000000004454: 0B1D1CFA FF01560F
	v_mul_f32_dpp v143, v15, v143 row_newbcast:7 row_mask:0xf bank_mask:0xf// 00000000445C: 0B1F1EFA FF01570F
	v_mul_f32_e32 v144, v13, v144                              // 000000004464: 0B21210D
	v_mul_f32_e32 v145, v13, v145                              // 000000004468: 0B23230D
	v_mul_f32_e32 v146, v13, v146                              // 00000000446C: 0B25250D
	v_mul_f32_e32 v147, v13, v147                              // 000000004470: 0B27270D
	v_mul_f32_dpp v144, v15, v144 row_newbcast:8 row_mask:0xf bank_mask:0xf// 000000004474: 0B2120FA FF01580F
	v_mul_f32_dpp v145, v15, v145 row_newbcast:9 row_mask:0xf bank_mask:0xf// 00000000447C: 0B2322FA FF01590F
	v_mul_f32_dpp v146, v15, v146 row_newbcast:10 row_mask:0xf bank_mask:0xf// 000000004484: 0B2524FA FF015A0F
	v_mul_f32_dpp v147, v15, v147 row_newbcast:11 row_mask:0xf bank_mask:0xf// 00000000448C: 0B2726FA FF015B0F
	v_mul_f32_e32 v148, v14, v148                              // 000000004494: 0B29290E
	v_mul_f32_e32 v149, v14, v149                              // 000000004498: 0B2B2B0E
	v_mul_f32_e32 v150, v14, v150                              // 00000000449C: 0B2D2D0E
	v_mul_f32_e32 v151, v14, v151                              // 0000000044A0: 0B2F2F0E
	v_mul_f32_dpp v148, v15, v148 row_newbcast:8 row_mask:0xf bank_mask:0xf// 0000000044A4: 0B2928FA FF01580F
	v_mul_f32_dpp v149, v15, v149 row_newbcast:9 row_mask:0xf bank_mask:0xf// 0000000044AC: 0B2B2AFA FF01590F
	v_mul_f32_dpp v150, v15, v150 row_newbcast:10 row_mask:0xf bank_mask:0xf// 0000000044B4: 0B2D2CFA FF015A0F
	v_mul_f32_dpp v151, v15, v151 row_newbcast:11 row_mask:0xf bank_mask:0xf// 0000000044BC: 0B2F2EFA FF015B0F
	v_mul_f32_e32 v152, v13, v152                              // 0000000044C4: 0B31310D
	v_mul_f32_e32 v153, v13, v153                              // 0000000044C8: 0B33330D
	v_mul_f32_e32 v154, v13, v154                              // 0000000044CC: 0B35350D
	v_mul_f32_e32 v155, v13, v155                              // 0000000044D0: 0B37370D
	v_mul_f32_dpp v152, v15, v152 row_newbcast:12 row_mask:0xf bank_mask:0xf// 0000000044D4: 0B3130FA FF015C0F
	v_mul_f32_dpp v153, v15, v153 row_newbcast:13 row_mask:0xf bank_mask:0xf// 0000000044DC: 0B3332FA FF015D0F
	v_mul_f32_dpp v154, v15, v154 row_newbcast:14 row_mask:0xf bank_mask:0xf// 0000000044E4: 0B3534FA FF015E0F
	v_mul_f32_dpp v155, v15, v155 row_newbcast:15 row_mask:0xf bank_mask:0xf// 0000000044EC: 0B3736FA FF015F0F
	v_mul_f32_e32 v156, v14, v156                              // 0000000044F4: 0B39390E
	v_mul_f32_e32 v157, v14, v157                              // 0000000044F8: 0B3B3B0E
	v_mul_f32_e32 v158, v14, v158                              // 0000000044FC: 0B3D3D0E
	v_mul_f32_e32 v159, v14, v159                              // 000000004500: 0B3F3F0E
	v_mul_f32_dpp v156, v15, v156 row_newbcast:12 row_mask:0xf bank_mask:0xf// 000000004504: 0B3938FA FF015C0F
	v_mul_f32_dpp v157, v15, v157 row_newbcast:13 row_mask:0xf bank_mask:0xf// 00000000450C: 0B3B3AFA FF015D0F
	v_mul_f32_dpp v158, v15, v158 row_newbcast:14 row_mask:0xf bank_mask:0xf// 000000004514: 0B3D3CFA FF015E0F
	v_mul_f32_dpp v159, v15, v159 row_newbcast:15 row_mask:0xf bank_mask:0xf// 00000000451C: 0B3F3EFA FF015F0F
	v_mul_f32_e32 v64, v13, v64                                // 000000004524: 0A80810D
	v_mul_f32_e32 v65, v13, v65                                // 000000004528: 0A82830D
	v_mul_f32_e32 v66, v13, v66                                // 00000000452C: 0A84850D
	v_mul_f32_e32 v67, v13, v67                                // 000000004530: 0A86870D
	v_mul_f32_dpp v64, v44, v64 row_newbcast:0 row_mask:0xf bank_mask:0xf// 000000004534: 0A8080FA FF01502C
	v_mul_f32_dpp v65, v44, v65 row_newbcast:1 row_mask:0xf bank_mask:0xf// 00000000453C: 0A8282FA FF01512C
	v_mul_f32_dpp v66, v44, v66 row_newbcast:2 row_mask:0xf bank_mask:0xf// 000000004544: 0A8484FA FF01522C
	v_mul_f32_dpp v67, v44, v67 row_newbcast:3 row_mask:0xf bank_mask:0xf// 00000000454C: 0A8686FA FF01532C
	v_mul_f32_e32 v68, v14, v68                                // 000000004554: 0A88890E
	v_mul_f32_e32 v69, v14, v69                                // 000000004558: 0A8A8B0E
	v_mul_f32_e32 v70, v14, v70                                // 00000000455C: 0A8C8D0E
	v_mul_f32_e32 v71, v14, v71                                // 000000004560: 0A8E8F0E
	v_mul_f32_dpp v68, v44, v68 row_newbcast:0 row_mask:0xf bank_mask:0xf// 000000004564: 0A8888FA FF01502C
	v_mul_f32_dpp v69, v44, v69 row_newbcast:1 row_mask:0xf bank_mask:0xf// 00000000456C: 0A8A8AFA FF01512C
	v_mul_f32_dpp v70, v44, v70 row_newbcast:2 row_mask:0xf bank_mask:0xf// 000000004574: 0A8C8CFA FF01522C
	v_mul_f32_dpp v71, v44, v71 row_newbcast:3 row_mask:0xf bank_mask:0xf// 00000000457C: 0A8E8EFA FF01532C
	v_mul_f32_e32 v72, v13, v72                                // 000000004584: 0A90910D
	v_mul_f32_e32 v73, v13, v73                                // 000000004588: 0A92930D
	v_mul_f32_e32 v74, v13, v74                                // 00000000458C: 0A94950D
	v_mul_f32_e32 v75, v13, v75                                // 000000004590: 0A96970D
	v_mul_f32_dpp v72, v44, v72 row_newbcast:4 row_mask:0xf bank_mask:0xf// 000000004594: 0A9090FA FF01542C
	v_mul_f32_dpp v73, v44, v73 row_newbcast:5 row_mask:0xf bank_mask:0xf// 00000000459C: 0A9292FA FF01552C
	v_mul_f32_dpp v74, v44, v74 row_newbcast:6 row_mask:0xf bank_mask:0xf// 0000000045A4: 0A9494FA FF01562C
	v_mul_f32_dpp v75, v44, v75 row_newbcast:7 row_mask:0xf bank_mask:0xf// 0000000045AC: 0A9696FA FF01572C
	v_mul_f32_e32 v76, v14, v76                                // 0000000045B4: 0A98990E
	v_mul_f32_e32 v77, v14, v77                                // 0000000045B8: 0A9A9B0E
	v_mul_f32_e32 v78, v14, v78                                // 0000000045BC: 0A9C9D0E
	v_mul_f32_e32 v79, v14, v79                                // 0000000045C0: 0A9E9F0E
	v_mul_f32_dpp v76, v44, v76 row_newbcast:4 row_mask:0xf bank_mask:0xf// 0000000045C4: 0A9898FA FF01542C
	v_mul_f32_dpp v77, v44, v77 row_newbcast:5 row_mask:0xf bank_mask:0xf// 0000000045CC: 0A9A9AFA FF01552C
	v_mul_f32_dpp v78, v44, v78 row_newbcast:6 row_mask:0xf bank_mask:0xf// 0000000045D4: 0A9C9CFA FF01562C
	v_mul_f32_dpp v79, v44, v79 row_newbcast:7 row_mask:0xf bank_mask:0xf// 0000000045DC: 0A9E9EFA FF01572C
	v_mul_f32_e32 v80, v13, v80                                // 0000000045E4: 0AA0A10D
	v_mul_f32_e32 v81, v13, v81                                // 0000000045E8: 0AA2A30D
	v_mul_f32_e32 v82, v13, v82                                // 0000000045EC: 0AA4A50D
	v_mul_f32_e32 v83, v13, v83                                // 0000000045F0: 0AA6A70D
	v_mul_f32_dpp v80, v44, v80 row_newbcast:8 row_mask:0xf bank_mask:0xf// 0000000045F4: 0AA0A0FA FF01582C
	v_mul_f32_dpp v81, v44, v81 row_newbcast:9 row_mask:0xf bank_mask:0xf// 0000000045FC: 0AA2A2FA FF01592C
	v_mul_f32_dpp v82, v44, v82 row_newbcast:10 row_mask:0xf bank_mask:0xf// 000000004604: 0AA4A4FA FF015A2C
	v_mul_f32_dpp v83, v44, v83 row_newbcast:11 row_mask:0xf bank_mask:0xf// 00000000460C: 0AA6A6FA FF015B2C
	v_mul_f32_e32 v84, v14, v84                                // 000000004614: 0AA8A90E
	v_mul_f32_e32 v85, v14, v85                                // 000000004618: 0AAAAB0E
	v_mul_f32_e32 v86, v14, v86                                // 00000000461C: 0AACAD0E
	v_mul_f32_e32 v87, v14, v87                                // 000000004620: 0AAEAF0E
	v_mul_f32_dpp v84, v44, v84 row_newbcast:8 row_mask:0xf bank_mask:0xf// 000000004624: 0AA8A8FA FF01582C
	v_mul_f32_dpp v85, v44, v85 row_newbcast:9 row_mask:0xf bank_mask:0xf// 00000000462C: 0AAAAAFA FF01592C
	v_mul_f32_dpp v86, v44, v86 row_newbcast:10 row_mask:0xf bank_mask:0xf// 000000004634: 0AACACFA FF015A2C
	v_mul_f32_dpp v87, v44, v87 row_newbcast:11 row_mask:0xf bank_mask:0xf// 00000000463C: 0AAEAEFA FF015B2C
	v_mul_f32_e32 v88, v13, v88                                // 000000004644: 0AB0B10D
	v_mul_f32_e32 v89, v13, v89                                // 000000004648: 0AB2B30D
	v_mul_f32_e32 v90, v13, v90                                // 00000000464C: 0AB4B50D
	v_mul_f32_e32 v91, v13, v91                                // 000000004650: 0AB6B70D
	v_mul_f32_dpp v88, v44, v88 row_newbcast:12 row_mask:0xf bank_mask:0xf// 000000004654: 0AB0B0FA FF015C2C
	v_mul_f32_dpp v89, v44, v89 row_newbcast:13 row_mask:0xf bank_mask:0xf// 00000000465C: 0AB2B2FA FF015D2C
	v_mul_f32_dpp v90, v44, v90 row_newbcast:14 row_mask:0xf bank_mask:0xf// 000000004664: 0AB4B4FA FF015E2C
	v_mul_f32_dpp v91, v44, v91 row_newbcast:15 row_mask:0xf bank_mask:0xf// 00000000466C: 0AB6B6FA FF015F2C
	v_mul_f32_e32 v92, v14, v92                                // 000000004674: 0AB8B90E
	v_mul_f32_e32 v93, v14, v93                                // 000000004678: 0ABABB0E
	v_mul_f32_e32 v94, v14, v94                                // 00000000467C: 0ABCBD0E
	v_mul_f32_e32 v95, v14, v95                                // 000000004680: 0ABEBF0E
	v_mul_f32_dpp v92, v44, v92 row_newbcast:12 row_mask:0xf bank_mask:0xf// 000000004684: 0AB8B8FA FF015C2C
	v_mul_f32_dpp v93, v44, v93 row_newbcast:13 row_mask:0xf bank_mask:0xf// 00000000468C: 0ABABAFA FF015D2C
	v_mul_f32_dpp v94, v44, v94 row_newbcast:14 row_mask:0xf bank_mask:0xf// 000000004694: 0ABCBCFA FF015E2C
	v_mul_f32_dpp v95, v44, v95 row_newbcast:15 row_mask:0xf bank_mask:0xf// 00000000469C: 0ABEBEFA FF015F2C
	s_waitcnt vmcnt(12)                                        // 0000000046A4: BF8C0F7C
	buffer_load_dwordx4 a[0:3], v36, s[12:15], 0 offen         // 0000000046A8: E05C1000 80830024
	v_mul_f32_e64 v46, -v128, s6                               // 0000000046B0: D105002E 20000D80
	v_mul_f32_e64 v47, -v129, s6                               // 0000000046B8: D105002F 20000D81
	v_mul_f32_e64 v48, -v130, s6                               // 0000000046C0: D1050030 20000D82
	v_mul_f32_e64 v49, -v131, s6                               // 0000000046C8: D1050031 20000D83
	v_exp_f32_e32 v46, v46                                     // 0000000046D0: 7E5C412E
	v_exp_f32_e32 v47, v47                                     // 0000000046D4: 7E5E412F
	v_exp_f32_e32 v48, v48                                     // 0000000046D8: 7E604130
	v_exp_f32_e32 v49, v49                                     // 0000000046DC: 7E624131
	buffer_load_dwordx4 a[4:7], v37, s[12:15], 0 offen         // 0000000046E0: E05C1000 80830425
	v_add_f32_e64 v46, v46, 1.0                                // 0000000046E8: D101002E 0001E52E
	v_add_f32_e64 v47, v47, 1.0                                // 0000000046F0: D101002F 0001E52F
	v_add_f32_e64 v48, v48, 1.0                                // 0000000046F8: D1010030 0001E530
	v_add_f32_e64 v49, v49, 1.0                                // 000000004700: D1010031 0001E531
	v_rcp_f32_e32 v46, v46                                     // 000000004708: 7E5C452E
	v_rcp_f32_e32 v47, v47                                     // 00000000470C: 7E5E452F
	v_rcp_f32_e32 v48, v48                                     // 000000004710: 7E604530
	v_rcp_f32_e32 v49, v49                                     // 000000004714: 7E624531
	v_mul_f32_e32 v128, v128, v46                              // 000000004718: 0B005D80
	v_mul_f32_e32 v129, v129, v47                              // 00000000471C: 0B025F81
	v_mul_f32_e32 v130, v130, v48                              // 000000004720: 0B046182
	v_mul_f32_e32 v131, v131, v49                              // 000000004724: 0B066383
	v_mul_f32_e32 v128, v128, v64                              // 000000004728: 0B008180
	v_mul_f32_e32 v129, v129, v65                              // 00000000472C: 0B028381
	v_mul_f32_e32 v130, v130, v66                              // 000000004730: 0B048582
	v_mul_f32_e32 v131, v131, v67                              // 000000004734: 0B068783
	buffer_load_dwordx4 a[8:11], v38, s[12:15], 0 offen        // 000000004738: E05C1000 80830826
	v_mul_f32_e64 v46, -v132, s6                               // 000000004740: D105002E 20000D84
	v_mul_f32_e64 v47, -v133, s6                               // 000000004748: D105002F 20000D85
	v_mul_f32_e64 v48, -v134, s6                               // 000000004750: D1050030 20000D86
	v_mul_f32_e64 v49, -v135, s6                               // 000000004758: D1050031 20000D87
	v_exp_f32_e32 v46, v46                                     // 000000004760: 7E5C412E
	v_exp_f32_e32 v47, v47                                     // 000000004764: 7E5E412F
	v_exp_f32_e32 v48, v48                                     // 000000004768: 7E604130
	v_exp_f32_e32 v49, v49                                     // 00000000476C: 7E624131
	buffer_load_dwordx4 a[12:15], v39, s[12:15], 0 offen       // 000000004770: E05C1000 80830C27
	s_add_u32 s12, s78, s12                                    // 000000004778: 800C0C4E
	s_addc_u32 s13, 0, s13                                     // 00000000477C: 820D0D80
	v_add_f32_e64 v46, v46, 1.0                                // 000000004780: D101002E 0001E52E
	v_add_f32_e64 v47, v47, 1.0                                // 000000004788: D101002F 0001E52F
	v_add_f32_e64 v48, v48, 1.0                                // 000000004790: D1010030 0001E530
	v_add_f32_e64 v49, v49, 1.0                                // 000000004798: D1010031 0001E531
	v_rcp_f32_e32 v46, v46                                     // 0000000047A0: 7E5C452E
	v_rcp_f32_e32 v47, v47                                     // 0000000047A4: 7E5E452F
	v_rcp_f32_e32 v48, v48                                     // 0000000047A8: 7E604530
	v_rcp_f32_e32 v49, v49                                     // 0000000047AC: 7E624531
	v_mul_f32_e32 v132, v132, v46                              // 0000000047B0: 0B085D84
	v_mul_f32_e32 v133, v133, v47                              // 0000000047B4: 0B0A5F85
	v_mul_f32_e32 v134, v134, v48                              // 0000000047B8: 0B0C6186
	v_mul_f32_e32 v135, v135, v49                              // 0000000047BC: 0B0E6387
	v_mul_f32_e32 v132, v132, v68                              // 0000000047C0: 0B088984
	v_mul_f32_e32 v133, v133, v69                              // 0000000047C4: 0B0A8B85
	v_mul_f32_e32 v134, v134, v70                              // 0000000047C8: 0B0C8D86
	v_mul_f32_e32 v135, v135, v71                              // 0000000047CC: 0B0E8F87
	s_waitcnt vmcnt(12)                                        // 0000000047D0: BF8C0F7C
	buffer_load_dwordx4 a[16:19], v36, s[12:15], 0 offen       // 0000000047D4: E05C1000 80831024
	v_mul_f32_e64 v46, -v136, s6                               // 0000000047DC: D105002E 20000D88
	v_mul_f32_e64 v47, -v137, s6                               // 0000000047E4: D105002F 20000D89
	v_mul_f32_e64 v48, -v138, s6                               // 0000000047EC: D1050030 20000D8A
	v_mul_f32_e64 v49, -v139, s6                               // 0000000047F4: D1050031 20000D8B
	v_exp_f32_e32 v46, v46                                     // 0000000047FC: 7E5C412E
	v_exp_f32_e32 v47, v47                                     // 000000004800: 7E5E412F
	v_exp_f32_e32 v48, v48                                     // 000000004804: 7E604130
	v_exp_f32_e32 v49, v49                                     // 000000004808: 7E624131
	buffer_load_dwordx4 a[20:23], v37, s[12:15], 0 offen       // 00000000480C: E05C1000 80831425
	v_add_f32_e64 v46, v46, 1.0                                // 000000004814: D101002E 0001E52E
	v_add_f32_e64 v47, v47, 1.0                                // 00000000481C: D101002F 0001E52F
	v_add_f32_e64 v48, v48, 1.0                                // 000000004824: D1010030 0001E530
	v_add_f32_e64 v49, v49, 1.0                                // 00000000482C: D1010031 0001E531
	v_rcp_f32_e32 v46, v46                                     // 000000004834: 7E5C452E
	v_rcp_f32_e32 v47, v47                                     // 000000004838: 7E5E452F
	v_rcp_f32_e32 v48, v48                                     // 00000000483C: 7E604530
	v_rcp_f32_e32 v49, v49                                     // 000000004840: 7E624531
	v_mul_f32_e32 v136, v136, v46                              // 000000004844: 0B105D88
	v_mul_f32_e32 v137, v137, v47                              // 000000004848: 0B125F89
	v_mul_f32_e32 v138, v138, v48                              // 00000000484C: 0B14618A
	v_mul_f32_e32 v139, v139, v49                              // 000000004850: 0B16638B
	v_mul_f32_e32 v136, v136, v72                              // 000000004854: 0B109188
	v_mul_f32_e32 v137, v137, v73                              // 000000004858: 0B129389
	v_mul_f32_e32 v138, v138, v74                              // 00000000485C: 0B14958A
	v_mul_f32_e32 v139, v139, v75                              // 000000004860: 0B16978B
	buffer_load_dwordx4 a[24:27], v38, s[12:15], 0 offen       // 000000004864: E05C1000 80831826
	v_mul_f32_e64 v46, -v140, s6                               // 00000000486C: D105002E 20000D8C
	v_mul_f32_e64 v47, -v141, s6                               // 000000004874: D105002F 20000D8D
	v_mul_f32_e64 v48, -v142, s6                               // 00000000487C: D1050030 20000D8E
	v_mul_f32_e64 v49, -v143, s6                               // 000000004884: D1050031 20000D8F
	v_exp_f32_e32 v46, v46                                     // 00000000488C: 7E5C412E
	v_exp_f32_e32 v47, v47                                     // 000000004890: 7E5E412F
	v_exp_f32_e32 v48, v48                                     // 000000004894: 7E604130
	v_exp_f32_e32 v49, v49                                     // 000000004898: 7E624131
	buffer_load_dwordx4 a[28:31], v39, s[12:15], 0 offen       // 00000000489C: E05C1000 80831C27
	s_add_u32 s12, s78, s12                                    // 0000000048A4: 800C0C4E
	s_addc_u32 s13, 0, s13                                     // 0000000048A8: 820D0D80
	v_add_f32_e64 v46, v46, 1.0                                // 0000000048AC: D101002E 0001E52E
	v_add_f32_e64 v47, v47, 1.0                                // 0000000048B4: D101002F 0001E52F
	v_add_f32_e64 v48, v48, 1.0                                // 0000000048BC: D1010030 0001E530
	v_add_f32_e64 v49, v49, 1.0                                // 0000000048C4: D1010031 0001E531
	v_rcp_f32_e32 v46, v46                                     // 0000000048CC: 7E5C452E
	v_rcp_f32_e32 v47, v47                                     // 0000000048D0: 7E5E452F
	v_rcp_f32_e32 v48, v48                                     // 0000000048D4: 7E604530
	v_rcp_f32_e32 v49, v49                                     // 0000000048D8: 7E624531
	v_mul_f32_e32 v140, v140, v46                              // 0000000048DC: 0B185D8C
	v_mul_f32_e32 v141, v141, v47                              // 0000000048E0: 0B1A5F8D
	v_mul_f32_e32 v142, v142, v48                              // 0000000048E4: 0B1C618E
	v_mul_f32_e32 v143, v143, v49                              // 0000000048E8: 0B1E638F
	v_mul_f32_e32 v140, v140, v76                              // 0000000048EC: 0B18998C
	v_mul_f32_e32 v141, v141, v77                              // 0000000048F0: 0B1A9B8D
	v_mul_f32_e32 v142, v142, v78                              // 0000000048F4: 0B1C9D8E
	v_mul_f32_e32 v143, v143, v79                              // 0000000048F8: 0B1E9F8F
	s_waitcnt vmcnt(12)                                        // 0000000048FC: BF8C0F7C
	buffer_load_dwordx4 a[32:35], v36, s[12:15], 0 offen       // 000000004900: E05C1000 80832024
	v_mul_f32_e64 v46, -v144, s6                               // 000000004908: D105002E 20000D90
	v_mul_f32_e64 v47, -v145, s6                               // 000000004910: D105002F 20000D91
	v_mul_f32_e64 v48, -v146, s6                               // 000000004918: D1050030 20000D92
	v_mul_f32_e64 v49, -v147, s6                               // 000000004920: D1050031 20000D93
	v_exp_f32_e32 v46, v46                                     // 000000004928: 7E5C412E
	v_exp_f32_e32 v47, v47                                     // 00000000492C: 7E5E412F
	v_exp_f32_e32 v48, v48                                     // 000000004930: 7E604130
	v_exp_f32_e32 v49, v49                                     // 000000004934: 7E624131
	buffer_load_dwordx4 a[36:39], v37, s[12:15], 0 offen       // 000000004938: E05C1000 80832425
	v_add_f32_e64 v46, v46, 1.0                                // 000000004940: D101002E 0001E52E
	v_add_f32_e64 v47, v47, 1.0                                // 000000004948: D101002F 0001E52F
	v_add_f32_e64 v48, v48, 1.0                                // 000000004950: D1010030 0001E530
	v_add_f32_e64 v49, v49, 1.0                                // 000000004958: D1010031 0001E531
	v_rcp_f32_e32 v46, v46                                     // 000000004960: 7E5C452E
	v_rcp_f32_e32 v47, v47                                     // 000000004964: 7E5E452F
	v_rcp_f32_e32 v48, v48                                     // 000000004968: 7E604530
	v_rcp_f32_e32 v49, v49                                     // 00000000496C: 7E624531
	v_mul_f32_e32 v144, v144, v46                              // 000000004970: 0B205D90
	v_mul_f32_e32 v145, v145, v47                              // 000000004974: 0B225F91
	v_mul_f32_e32 v146, v146, v48                              // 000000004978: 0B246192
	v_mul_f32_e32 v147, v147, v49                              // 00000000497C: 0B266393
	v_mul_f32_e32 v144, v144, v80                              // 000000004980: 0B20A190
	v_mul_f32_e32 v145, v145, v81                              // 000000004984: 0B22A391
	v_mul_f32_e32 v146, v146, v82                              // 000000004988: 0B24A592
	v_mul_f32_e32 v147, v147, v83                              // 00000000498C: 0B26A793
	buffer_load_dwordx4 a[40:43], v38, s[12:15], 0 offen       // 000000004990: E05C1000 80832826
	v_mul_f32_e64 v46, -v148, s6                               // 000000004998: D105002E 20000D94
	v_mul_f32_e64 v47, -v149, s6                               // 0000000049A0: D105002F 20000D95
	v_mul_f32_e64 v48, -v150, s6                               // 0000000049A8: D1050030 20000D96
	v_mul_f32_e64 v49, -v151, s6                               // 0000000049B0: D1050031 20000D97
	v_exp_f32_e32 v46, v46                                     // 0000000049B8: 7E5C412E
	v_exp_f32_e32 v47, v47                                     // 0000000049BC: 7E5E412F
	v_exp_f32_e32 v48, v48                                     // 0000000049C0: 7E604130
	v_exp_f32_e32 v49, v49                                     // 0000000049C4: 7E624131
	buffer_load_dwordx4 a[44:47], v39, s[12:15], 0 offen       // 0000000049C8: E05C1000 80832C27
	s_add_u32 s12, s78, s12                                    // 0000000049D0: 800C0C4E
	s_addc_u32 s13, 0, s13                                     // 0000000049D4: 820D0D80
	v_add_f32_e64 v46, v46, 1.0                                // 0000000049D8: D101002E 0001E52E
	v_add_f32_e64 v47, v47, 1.0                                // 0000000049E0: D101002F 0001E52F
	v_add_f32_e64 v48, v48, 1.0                                // 0000000049E8: D1010030 0001E530
	v_add_f32_e64 v49, v49, 1.0                                // 0000000049F0: D1010031 0001E531
	v_rcp_f32_e32 v46, v46                                     // 0000000049F8: 7E5C452E
	v_rcp_f32_e32 v47, v47                                     // 0000000049FC: 7E5E452F
	v_rcp_f32_e32 v48, v48                                     // 000000004A00: 7E604530
	v_rcp_f32_e32 v49, v49                                     // 000000004A04: 7E624531
	v_mul_f32_e32 v148, v148, v46                              // 000000004A08: 0B285D94
	v_mul_f32_e32 v149, v149, v47                              // 000000004A0C: 0B2A5F95
	v_mul_f32_e32 v150, v150, v48                              // 000000004A10: 0B2C6196
	v_mul_f32_e32 v151, v151, v49                              // 000000004A14: 0B2E6397
	v_mul_f32_e32 v148, v148, v84                              // 000000004A18: 0B28A994
	v_mul_f32_e32 v149, v149, v85                              // 000000004A1C: 0B2AAB95
	v_mul_f32_e32 v150, v150, v86                              // 000000004A20: 0B2CAD96
	v_mul_f32_e32 v151, v151, v87                              // 000000004A24: 0B2EAF97
	s_waitcnt vmcnt(12)                                        // 000000004A28: BF8C0F7C
	buffer_load_dwordx4 a[48:51], v36, s[12:15], 0 offen       // 000000004A2C: E05C1000 80833024
	v_mul_f32_e64 v46, -v152, s6                               // 000000004A34: D105002E 20000D98
	v_mul_f32_e64 v47, -v153, s6                               // 000000004A3C: D105002F 20000D99
	v_mul_f32_e64 v48, -v154, s6                               // 000000004A44: D1050030 20000D9A
	v_mul_f32_e64 v49, -v155, s6                               // 000000004A4C: D1050031 20000D9B
	v_exp_f32_e32 v46, v46                                     // 000000004A54: 7E5C412E
	v_exp_f32_e32 v47, v47                                     // 000000004A58: 7E5E412F
	v_exp_f32_e32 v48, v48                                     // 000000004A5C: 7E604130
	v_exp_f32_e32 v49, v49                                     // 000000004A60: 7E624131
	buffer_load_dwordx4 a[52:55], v37, s[12:15], 0 offen       // 000000004A64: E05C1000 80833425
	v_add_f32_e64 v46, v46, 1.0                                // 000000004A6C: D101002E 0001E52E
	v_add_f32_e64 v47, v47, 1.0                                // 000000004A74: D101002F 0001E52F
	v_add_f32_e64 v48, v48, 1.0                                // 000000004A7C: D1010030 0001E530
	v_add_f32_e64 v49, v49, 1.0                                // 000000004A84: D1010031 0001E531
	v_rcp_f32_e32 v46, v46                                     // 000000004A8C: 7E5C452E
	v_rcp_f32_e32 v47, v47                                     // 000000004A90: 7E5E452F
	v_rcp_f32_e32 v48, v48                                     // 000000004A94: 7E604530
	v_rcp_f32_e32 v49, v49                                     // 000000004A98: 7E624531
	v_mul_f32_e32 v152, v152, v46                              // 000000004A9C: 0B305D98
	v_mul_f32_e32 v153, v153, v47                              // 000000004AA0: 0B325F99
	v_mul_f32_e32 v154, v154, v48                              // 000000004AA4: 0B34619A
	v_mul_f32_e32 v155, v155, v49                              // 000000004AA8: 0B36639B
	v_mul_f32_e32 v152, v152, v88                              // 000000004AAC: 0B30B198
	v_mul_f32_e32 v153, v153, v89                              // 000000004AB0: 0B32B399
	v_mul_f32_e32 v154, v154, v90                              // 000000004AB4: 0B34B59A
	v_mul_f32_e32 v155, v155, v91                              // 000000004AB8: 0B36B79B
	buffer_load_dwordx4 a[56:59], v38, s[12:15], 0 offen       // 000000004ABC: E05C1000 80833826
	v_mul_f32_e64 v46, -v156, s6                               // 000000004AC4: D105002E 20000D9C
	v_mul_f32_e64 v47, -v157, s6                               // 000000004ACC: D105002F 20000D9D
	v_mul_f32_e64 v48, -v158, s6                               // 000000004AD4: D1050030 20000D9E
	v_mul_f32_e64 v49, -v159, s6                               // 000000004ADC: D1050031 20000D9F
	v_exp_f32_e32 v46, v46                                     // 000000004AE4: 7E5C412E
	v_exp_f32_e32 v47, v47                                     // 000000004AE8: 7E5E412F
	v_exp_f32_e32 v48, v48                                     // 000000004AEC: 7E604130
	v_exp_f32_e32 v49, v49                                     // 000000004AF0: 7E624131
	buffer_load_dwordx4 a[60:63], v39, s[12:15], 0 offen       // 000000004AF4: E05C1000 80833C27
	v_add_f32_e64 v46, v46, 1.0                                // 000000004AFC: D101002E 0001E52E
	v_add_f32_e64 v47, v47, 1.0                                // 000000004B04: D101002F 0001E52F
	v_add_f32_e64 v48, v48, 1.0                                // 000000004B0C: D1010030 0001E530
	v_add_f32_e64 v49, v49, 1.0                                // 000000004B14: D1010031 0001E531
	v_rcp_f32_e32 v46, v46                                     // 000000004B1C: 7E5C452E
	v_rcp_f32_e32 v47, v47                                     // 000000004B20: 7E5E452F
	v_rcp_f32_e32 v48, v48                                     // 000000004B24: 7E604530
	v_rcp_f32_e32 v49, v49                                     // 000000004B28: 7E624531
	v_mul_f32_e32 v156, v156, v46                              // 000000004B2C: 0B385D9C
	v_mul_f32_e32 v157, v157, v47                              // 000000004B30: 0B3A5F9D
	v_mul_f32_e32 v158, v158, v48                              // 000000004B34: 0B3C619E
	v_mul_f32_e32 v159, v159, v49                              // 000000004B38: 0B3E639F
	v_mul_f32_e32 v156, v156, v92                              // 000000004B3C: 0B38B99C
	v_mul_f32_e32 v157, v157, v93                              // 000000004B40: 0B3ABB9D
	v_mul_f32_e32 v158, v158, v94                              // 000000004B44: 0B3CBD9E
	v_mul_f32_e32 v159, v159, v95                              // 000000004B48: 0B3EBF9F
	v_lshlrev_b32_e32 v46, 2, v0                               // 000000004B4C: 245C0082
	s_mul_i32 s60, s82, s71                                    // 000000004B50: 923C4752
	v_add_u32_e64 v80, v46, s60                                // 000000004B54: D1340050 0000792E
	v_mov_b32_e32 v81, 0                                       // 000000004B5C: 7EA20280
	s_mul_i32 s60, s83, s71                                    // 000000004B60: 923C4753
	v_add_u32_e64 v82, v46, s60                                // 000000004B64: D1340052 0000792E
	v_mov_b32_e32 v83, 0                                       // 000000004B6C: 7EA60280
	s_mul_i32 s60, s84, s71                                    // 000000004B70: 923C4754
	v_add_u32_e64 v84, v46, s60                                // 000000004B74: D1340054 0000792E
	v_mov_b32_e32 v85, 0                                       // 000000004B7C: 7EAA0280
	s_mul_i32 s60, s85, s71                                    // 000000004B80: 923C4755
	v_add_u32_e64 v86, v46, s60                                // 000000004B84: D1340056 0000792E
	v_mov_b32_e32 v87, 0                                       // 000000004B8C: 7EAE0280
	s_mul_i32 s60, s86, s71                                    // 000000004B90: 923C4756
	v_add_u32_e64 v88, v46, s60                                // 000000004B94: D1340058 0000792E
	v_mov_b32_e32 v89, 0                                       // 000000004B9C: 7EB20280
	s_mul_i32 s60, s87, s71                                    // 000000004BA0: 923C4757
	v_add_u32_e64 v90, v46, s60                                // 000000004BA4: D134005A 0000792E
	v_mov_b32_e32 v91, 0                                       // 000000004BAC: 7EB60280
	s_mul_i32 s60, s88, s71                                    // 000000004BB0: 923C4758
	v_add_u32_e64 v92, v46, s60                                // 000000004BB4: D134005C 0000792E
	v_mov_b32_e32 v93, 0                                       // 000000004BBC: 7EBA0280
	s_mul_i32 s60, s89, s71                                    // 000000004BC0: 923C4759
	v_add_u32_e64 v94, v46, s60                                // 000000004BC4: D134005E 0000792E
	v_mov_b32_e32 v95, 0                                       // 000000004BCC: 7EBE0280
	buffer_load_dword v11, v5, s[16:19], 0 offen               // 000000004BD0: E0501000 80040B05
	v_mov_b32_e32 v20, 0x358637bd                              // 000000004BD8: 7E2802FF 358637BD
	v_mov_b32_e32 v21, 0x358637bd                              // 000000004BE0: 7E2A02FF 358637BD
	v_max3_f32 v20, |v128|, |v129|, v20                        // 000000004BE8: D1D30314 04530380
	v_max3_f32 v20, |v130|, |v131|, v20                        // 000000004BF0: D1D30314 04530782
	v_max3_f32 v21, |v132|, |v133|, v21                        // 000000004BF8: D1D30315 04570B84
	v_max3_f32 v21, |v134|, |v135|, v21                        // 000000004C00: D1D30315 04570F86
	v_max3_f32 v20, |v136|, |v137|, v20                        // 000000004C08: D1D30314 04531388
	v_max3_f32 v20, |v138|, |v139|, v20                        // 000000004C10: D1D30314 0453178A
	v_max3_f32 v21, |v140|, |v141|, v21                        // 000000004C18: D1D30315 04571B8C
	v_max3_f32 v21, |v142|, |v143|, v21                        // 000000004C20: D1D30315 04571F8E
	v_max3_f32 v20, |v144|, |v145|, v20                        // 000000004C28: D1D30314 04532390
	v_max3_f32 v20, |v146|, |v147|, v20                        // 000000004C30: D1D30314 04532792
	v_max3_f32 v21, |v148|, |v149|, v21                        // 000000004C38: D1D30315 04572B94
	v_max3_f32 v21, |v150|, |v151|, v21                        // 000000004C40: D1D30315 04572F96
	v_max3_f32 v20, |v152|, |v153|, v20                        // 000000004C48: D1D30314 04533398
	v_max3_f32 v20, |v154|, |v155|, v20                        // 000000004C50: D1D30314 0453379A
	v_max3_f32 v21, |v156|, |v157|, v21                        // 000000004C58: D1D30315 04573B9C
	v_max3_f32 v21, |v158|, |v159|, v21                        // 000000004C60: D1D30315 04573F9E
	v_lshlrev_b32_e32 v46, 3, v0                               // 000000004C68: 245C0083
	s_mul_i32 s60, 0x200, s7                                   // 000000004C6C: 923C07FF 00000200
	v_add_u32_e32 v46, s60, v46                                // 000000004C74: 685C5C3C
	ds_write_b64 v46, v[20:21] offset:16640                    // 000000004C78: D89A4100 0000142E
	s_waitcnt lgkmcnt(0)                                       // 000000004C80: BF8CC07F
	s_barrier                                                  // 000000004C84: BF8A0000
	v_and_b32_e32 v46, 15, v0                                  // 000000004C88: 265C008F
	v_lshlrev_b32_e32 v46, 3, v46                              // 000000004C8C: 245C5C83
	ds_read_b64 v[96:97], v46 offset:16640                     // 000000004C90: D8EC4100 6000002E
	ds_read_b64 v[98:99], v46 offset:16768                     // 000000004C98: D8EC4180 6200002E
	ds_read_b64 v[100:101], v46 offset:16896                   // 000000004CA0: D8EC4200 6400002E
	ds_read_b64 v[102:103], v46 offset:17024                   // 000000004CA8: D8EC4280 6600002E
	ds_read_b64 v[104:105], v46 offset:17152                   // 000000004CB0: D8EC4300 6800002E
	ds_read_b64 v[106:107], v46 offset:17280                   // 000000004CB8: D8EC4380 6A00002E
	ds_read_b64 v[108:109], v46 offset:17408                   // 000000004CC0: D8EC4400 6C00002E
	ds_read_b64 v[110:111], v46 offset:17536                   // 000000004CC8: D8EC4480 6E00002E
	ds_read_b64 v[112:113], v46 offset:17664                   // 000000004CD0: D8EC4500 7000002E
	ds_read_b64 v[114:115], v46 offset:17792                   // 000000004CD8: D8EC4580 7200002E
	ds_read_b64 v[116:117], v46 offset:17920                   // 000000004CE0: D8EC4600 7400002E
	ds_read_b64 v[118:119], v46 offset:18048                   // 000000004CE8: D8EC4680 7600002E
	ds_read_b64 v[120:121], v46 offset:18176                   // 000000004CF0: D8EC4700 7800002E
	ds_read_b64 v[122:123], v46 offset:18304                   // 000000004CF8: D8EC4780 7A00002E
	ds_read_b64 v[124:125], v46 offset:18432                   // 000000004D00: D8EC4800 7C00002E
	ds_read_b64 v[126:127], v46 offset:18560                   // 000000004D08: D8EC4880 7E00002E
	s_waitcnt lgkmcnt(0)                                       // 000000004D10: BF8CC07F
	v_max3_f32 v20, |v96|, |v98|, v20                          // 000000004D14: D1D30314 0452C560
	v_max3_f32 v21, |v97|, |v99|, v21                          // 000000004D1C: D1D30315 0456C761
	v_max3_f32 v20, |v100|, |v102|, v20                        // 000000004D24: D1D30314 0452CD64
	v_max3_f32 v21, |v101|, |v103|, v21                        // 000000004D2C: D1D30315 0456CF65
	v_max3_f32 v20, |v104|, |v106|, v20                        // 000000004D34: D1D30314 0452D568
	v_max3_f32 v21, |v105|, |v107|, v21                        // 000000004D3C: D1D30315 0456D769
	v_max3_f32 v20, |v108|, |v110|, v20                        // 000000004D44: D1D30314 0452DD6C
	v_max3_f32 v21, |v109|, |v111|, v21                        // 000000004D4C: D1D30315 0456DF6D
	v_max3_f32 v20, |v112|, |v114|, v20                        // 000000004D54: D1D30314 0452E570
	v_max3_f32 v21, |v113|, |v115|, v21                        // 000000004D5C: D1D30315 0456E771
	v_max3_f32 v20, |v116|, |v118|, v20                        // 000000004D64: D1D30314 0452ED74
	v_max3_f32 v21, |v117|, |v119|, v21                        // 000000004D6C: D1D30315 0456EF75
	v_max3_f32 v20, |v120|, |v122|, v20                        // 000000004D74: D1D30314 0452F578
	v_max3_f32 v21, |v121|, |v123|, v21                        // 000000004D7C: D1D30315 0456F779
	v_max3_f32 v20, |v124|, |v126|, v20                        // 000000004D84: D1D30314 0452FD7C
	v_max3_f32 v21, |v125|, |v127|, v21                        // 000000004D8C: D1D30315 0456FF7D
	v_rcp_f32_e32 v20, v20                                     // 000000004D94: 7E284514
	v_rcp_f32_e32 v21, v21                                     // 000000004D98: 7E2A4515
	v_mov_b32_e32 v46, 0x43700000                              // 000000004D9C: 7E5C02FF 43700000
	v_mul_f32_e32 v20, v46, v20                                // 000000004DA4: 0A28292E
	v_mul_f32_e32 v21, v46, v21                                // 000000004DA8: 0A2A2B2E
	v_mul_f32_e32 v128, v20, v128                              // 000000004DAC: 0B010114
	v_mul_f32_e32 v129, v20, v129                              // 000000004DB0: 0B030314
	v_mul_f32_e32 v130, v20, v130                              // 000000004DB4: 0B050514
	v_mul_f32_e32 v131, v20, v131                              // 000000004DB8: 0B070714
	v_cvt_pk_fp8_f32 v128, v128, v129                          // 000000004DBC: D2A20080 00030380
	v_cvt_pk_fp8_f32 v128, v130, v131 op_sel:[0,0,1]           // 000000004DC4: D2A24080 00030782
	v_mul_f32_e32 v132, v21, v132                              // 000000004DCC: 0B090915
	v_mul_f32_e32 v133, v21, v133                              // 000000004DD0: 0B0B0B15
	v_mul_f32_e32 v134, v21, v134                              // 000000004DD4: 0B0D0D15
	v_mul_f32_e32 v135, v21, v135                              // 000000004DD8: 0B0F0F15
	v_cvt_pk_fp8_f32 v129, v132, v133                          // 000000004DDC: D2A20081 00030B84
	v_cvt_pk_fp8_f32 v129, v134, v135 op_sel:[0,0,1]           // 000000004DE4: D2A24081 00030F86
	v_mul_f32_e32 v136, v20, v136                              // 000000004DEC: 0B111114
	v_mul_f32_e32 v137, v20, v137                              // 000000004DF0: 0B131314
	v_mul_f32_e32 v138, v20, v138                              // 000000004DF4: 0B151514
	v_mul_f32_e32 v139, v20, v139                              // 000000004DF8: 0B171714
	v_cvt_pk_fp8_f32 v130, v136, v137                          // 000000004DFC: D2A20082 00031388
	v_cvt_pk_fp8_f32 v130, v138, v139 op_sel:[0,0,1]           // 000000004E04: D2A24082 0003178A
	v_mul_f32_e32 v140, v21, v140                              // 000000004E0C: 0B191915
	v_mul_f32_e32 v141, v21, v141                              // 000000004E10: 0B1B1B15
	v_mul_f32_e32 v142, v21, v142                              // 000000004E14: 0B1D1D15
	v_mul_f32_e32 v143, v21, v143                              // 000000004E18: 0B1F1F15
	v_cvt_pk_fp8_f32 v131, v140, v141                          // 000000004E1C: D2A20083 00031B8C
	v_cvt_pk_fp8_f32 v131, v142, v143 op_sel:[0,0,1]           // 000000004E24: D2A24083 00031F8E
	v_mul_f32_e32 v144, v20, v144                              // 000000004E2C: 0B212114
	v_mul_f32_e32 v145, v20, v145                              // 000000004E30: 0B232314
	v_mul_f32_e32 v146, v20, v146                              // 000000004E34: 0B252514
	v_mul_f32_e32 v147, v20, v147                              // 000000004E38: 0B272714
	v_cvt_pk_fp8_f32 v132, v144, v145                          // 000000004E3C: D2A20084 00032390
	v_cvt_pk_fp8_f32 v132, v146, v147 op_sel:[0,0,1]           // 000000004E44: D2A24084 00032792
	v_mul_f32_e32 v148, v21, v148                              // 000000004E4C: 0B292915
	v_mul_f32_e32 v149, v21, v149                              // 000000004E50: 0B2B2B15
	v_mul_f32_e32 v150, v21, v150                              // 000000004E54: 0B2D2D15
	v_mul_f32_e32 v151, v21, v151                              // 000000004E58: 0B2F2F15
	v_cvt_pk_fp8_f32 v133, v148, v149                          // 000000004E5C: D2A20085 00032B94
	v_cvt_pk_fp8_f32 v133, v150, v151 op_sel:[0,0,1]           // 000000004E64: D2A24085 00032F96
	v_mul_f32_e32 v152, v20, v152                              // 000000004E6C: 0B313114
	v_mul_f32_e32 v153, v20, v153                              // 000000004E70: 0B333314
	v_mul_f32_e32 v154, v20, v154                              // 000000004E74: 0B353514
	v_mul_f32_e32 v155, v20, v155                              // 000000004E78: 0B373714
	v_cvt_pk_fp8_f32 v134, v152, v153                          // 000000004E7C: D2A20086 00033398
	v_cvt_pk_fp8_f32 v134, v154, v155 op_sel:[0,0,1]           // 000000004E84: D2A24086 0003379A
	v_mul_f32_e32 v156, v21, v156                              // 000000004E8C: 0B393915
	v_mul_f32_e32 v157, v21, v157                              // 000000004E90: 0B3B3B15
	v_mul_f32_e32 v158, v21, v158                              // 000000004E94: 0B3D3D15
	v_mul_f32_e32 v159, v21, v159                              // 000000004E98: 0B3F3F15
	v_cvt_pk_fp8_f32 v135, v156, v157                          // 000000004E9C: D2A20087 00033B9C
	v_cvt_pk_fp8_f32 v135, v158, v159 op_sel:[0,0,1]           // 000000004EA4: D2A24087 00033F9E
	v_rcp_f32_e32 v22, v20                                     // 000000004EAC: 7E2C4514
	v_rcp_f32_e32 v23, v21                                     // 000000004EB0: 7E2E4515
	v_lshrrev_b32_e32 v46, 5, v0                               // 000000004EB4: 205C0085
	v_lshlrev_b32_e32 v47, 5, v46                              // 000000004EB8: 245E5C85
	v_and_b32_e32 v46, 31, v0                                  // 000000004EBC: 265C009F
	v_lshrrev_b32_e32 v48, 4, v46                              // 000000004EC0: 20605C84
	v_add_u32_e32 v47, v48, v47                                // 000000004EC4: 685E5F30
	v_and_b32_e32 v46, 15, v0                                  // 000000004EC8: 265C008F
	v_lshlrev_b32_e32 v46, 1, v46                              // 000000004ECC: 245C5C81
	v_add_u32_e32 v47, v46, v47                                // 000000004ED0: 685E5F2E
	v_lshlrev_b32_e32 v46, 2, v47                              // 000000004ED4: 245C5E82
	s_mul_i32 s60, 0x100, s7                                   // 000000004ED8: 923C07FF 00000100
	v_add_u32_e64 v46, v46, s60                                // 000000004EE0: D134002E 0000792E
	ds_write_b32 v46, v128 offset:18688                        // 000000004EE8: D81A4900 0000802E
	ds_write_b32 v46, v129 offset:22784                        // 000000004EF0: D81A5900 0000812E
	ds_write_b32 v46, v130 offset:19712                        // 000000004EF8: D81A4D00 0000822E
	ds_write_b32 v46, v131 offset:23808                        // 000000004F00: D81A5D00 0000832E
	ds_write_b32 v46, v132 offset:20736                        // 000000004F08: D81A5100 0000842E
	ds_write_b32 v46, v133 offset:24832                        // 000000004F10: D81A6100 0000852E
	ds_write_b32 v46, v134 offset:21760                        // 000000004F18: D81A5500 0000862E
	ds_write_b32 v46, v135 offset:25856                        // 000000004F20: D81A6500 0000872E
	s_waitcnt lgkmcnt(0)                                       // 000000004F28: BF8CC07F
	s_barrier                                                  // 000000004F2C: BF8A0000
	v_lshrrev_b32_e32 v46, 4, v0                               // 000000004F30: 205C0084
	v_lshlrev_b32_e32 v47, 6, v46                              // 000000004F34: 245E5C86
	v_and_b32_e32 v46, 15, v0                                  // 000000004F38: 265C008F
	v_lshlrev_b32_e32 v46, 1, v46                              // 000000004F3C: 245C5C81
	v_add_u32_e32 v47, v46, v47                                // 000000004F40: 685E5F2E
	v_lshlrev_b32_e32 v46, 2, v47                              // 000000004F44: 245C5E82
	ds_read_b64 v[128:129], v46 offset:18688                   // 000000004F48: D8EC4900 8000002E
	ds_read_b64 v[130:131], v46 offset:18816                   // 000000004F50: D8EC4980 8200002E
	ds_read_b64 v[132:133], v46 offset:19712                   // 000000004F58: D8EC4D00 8400002E
	ds_read_b64 v[134:135], v46 offset:19840                   // 000000004F60: D8EC4D80 8600002E
	ds_read_b64 v[136:137], v46 offset:20736                   // 000000004F68: D8EC5100 8800002E
	ds_read_b64 v[138:139], v46 offset:20864                   // 000000004F70: D8EC5180 8A00002E
	ds_read_b64 v[140:141], v46 offset:21760                   // 000000004F78: D8EC5500 8C00002E
	ds_read_b64 v[142:143], v46 offset:21888                   // 000000004F80: D8EC5580 8E00002E
	ds_read_b64 v[144:145], v46 offset:22784                   // 000000004F88: D8EC5900 9000002E
	ds_read_b64 v[146:147], v46 offset:22912                   // 000000004F90: D8EC5980 9200002E
	ds_read_b64 v[148:149], v46 offset:23808                   // 000000004F98: D8EC5D00 9400002E
	ds_read_b64 v[150:151], v46 offset:23936                   // 000000004FA0: D8EC5D80 9600002E
	ds_read_b64 v[152:153], v46 offset:24832                   // 000000004FA8: D8EC6100 9800002E
	ds_read_b64 v[154:155], v46 offset:24960                   // 000000004FB0: D8EC6180 9A00002E
	ds_read_b64 v[156:157], v46 offset:25856                   // 000000004FB8: D8EC6500 9C00002E
	ds_read_b64 v[158:159], v46 offset:25984                   // 000000004FC0: D8EC6580 9E00002E
	s_add_u32 s12, s56, s12                                    // 000000004FC8: 800C0C38
	s_addc_u32 s13, 0, s13                                     // 000000004FCC: 820D0D80
	s_add_u32 s16, s79, s16                                    // 000000004FD0: 8010104F
	s_addc_u32 s17, 0, s17                                     // 000000004FD4: 82111180
	s_waitcnt lgkmcnt(0)                                       // 000000004FD8: BF8CC07F
	s_barrier                                                  // 000000004FDC: BF8A0000
	v_mov_b32_e32 v160, 0                                      // 000000004FE0: 7F400280
	v_mov_b32_e32 v192, 0                                      // 000000004FE4: 7F800280
	v_mov_b32_e32 v161, 0                                      // 000000004FE8: 7F420280
	v_mov_b32_e32 v193, 0                                      // 000000004FEC: 7F820280
	v_mov_b32_e32 v162, 0                                      // 000000004FF0: 7F440280
	v_mov_b32_e32 v194, 0                                      // 000000004FF4: 7F840280
	v_mov_b32_e32 v163, 0                                      // 000000004FF8: 7F460280
	v_mov_b32_e32 v195, 0                                      // 000000004FFC: 7F860280
	v_mov_b32_e32 v164, 0                                      // 000000005000: 7F480280
	v_mov_b32_e32 v196, 0                                      // 000000005004: 7F880280
	v_mov_b32_e32 v165, 0                                      // 000000005008: 7F4A0280
	v_mov_b32_e32 v197, 0                                      // 00000000500C: 7F8A0280
	v_mov_b32_e32 v166, 0                                      // 000000005010: 7F4C0280
	v_mov_b32_e32 v198, 0                                      // 000000005014: 7F8C0280
	v_mov_b32_e32 v167, 0                                      // 000000005018: 7F4E0280
	v_mov_b32_e32 v199, 0                                      // 00000000501C: 7F8E0280
	v_mov_b32_e32 v168, 0                                      // 000000005020: 7F500280
	v_mov_b32_e32 v200, 0                                      // 000000005024: 7F900280
	v_mov_b32_e32 v169, 0                                      // 000000005028: 7F520280
	v_mov_b32_e32 v201, 0                                      // 00000000502C: 7F920280
	v_mov_b32_e32 v170, 0                                      // 000000005030: 7F540280
	v_mov_b32_e32 v202, 0                                      // 000000005034: 7F940280
	v_mov_b32_e32 v171, 0                                      // 000000005038: 7F560280
	v_mov_b32_e32 v203, 0                                      // 00000000503C: 7F960280
	v_mov_b32_e32 v172, 0                                      // 000000005040: 7F580280
	v_mov_b32_e32 v204, 0                                      // 000000005044: 7F980280
	v_mov_b32_e32 v173, 0                                      // 000000005048: 7F5A0280
	v_mov_b32_e32 v205, 0                                      // 00000000504C: 7F9A0280
	v_mov_b32_e32 v174, 0                                      // 000000005050: 7F5C0280
	v_mov_b32_e32 v206, 0                                      // 000000005054: 7F9C0280
	v_mov_b32_e32 v175, 0                                      // 000000005058: 7F5E0280
	v_mov_b32_e32 v207, 0                                      // 00000000505C: 7F9E0280
	ds_write_b64 v3, v[160:161] offset:18688                   // 000000005060: D89A4900 0000A003
	ds_write_b64 v3, v[162:163] offset:27392                   // 000000005068: D89A6B00 0000A203
	ds_write_b64 v3, v[164:165] offset:20864                   // 000000005070: D89A5180 0000A403
	ds_write_b64 v3, v[166:167] offset:29568                   // 000000005078: D89A7380 0000A603
	ds_write_b64 v3, v[168:169] offset:23040                   // 000000005080: D89A5A00 0000A803
	ds_write_b64 v3, v[170:171] offset:31744                   // 000000005088: D89A7C00 0000AA03
	ds_write_b64 v3, v[172:173] offset:25216                   // 000000005090: D89A6280 0000AC03
	ds_write_b64 v3, v[174:175] offset:33920                   // 000000005098: D89A8480 0000AE03
	s_mov_b32 s80, 0                                           // 0000000050A0: BED00080
	s_waitcnt vmcnt(0) expcnt(0) lgkmcnt(0)                    // 0000000050A4: BF8C0000

00000000000050a8 <label_08AA>:
	s_waitcnt vmcnt(13) lgkmcnt(0)                             // 0000000050A8: BF8C007D
	s_barrier                                                  // 0000000050AC: BF8A0000
	v_mfma_f32_16x16x32_fp8_fp8 v[160:163], a[0:1], v[128:129], 0// 0000000050B0: D3F300A0 0A030100
	ds_read_b32 v64, v4 offset:18688                           // 0000000050B8: D86C4900 40000004
	ds_read_b32 v65, v4 offset:23040                           // 0000000050C0: D86C5A00 41000004
	v_mfma_f32_16x16x32_fp8_fp8 v[160:163], a[2:3], v[130:131], v[160:163]// 0000000050C8: D3F300A0 0E830502
	buffer_load_dwordx4 a[64:67], v36, s[12:15], 0 offen       // 0000000050D0: E05C1000 80834024
	v_mfma_f32_16x16x32_fp8_fp8 v[164:167], a[0:1], v[144:145], 0// 0000000050D8: D3F300A4 0A032100
	ds_read_b32 v66, v4 offset:18720                           // 0000000050E0: D86C4920 42000004
	ds_read_b32 v67, v4 offset:23072                           // 0000000050E8: D86C5A20 43000004
	v_mfma_f32_16x16x32_fp8_fp8 v[164:167], a[2:3], v[146:147], v[164:167]// 0000000050F0: D3F300A4 0E932502
	v_mfma_f32_16x16x32_fp8_fp8 v[168:171], a[4:5], v[128:129], 0// 0000000050F8: D3F300A8 0A030104
	ds_read_b32 v68, v4 offset:18752                           // 000000005100: D86C4940 44000004
	ds_read_b32 v69, v4 offset:23104                           // 000000005108: D86C5A40 45000004
	v_mfma_f32_16x16x32_fp8_fp8 v[168:171], a[6:7], v[130:131], v[168:171]// 000000005110: D3F300A8 0EA30506
	buffer_load_dwordx4 a[68:71], v37, s[12:15], 0 offen       // 000000005118: E05C1000 80834425
	v_mfma_f32_16x16x32_fp8_fp8 v[172:175], a[4:5], v[144:145], 0// 000000005120: D3F300AC 0A032104
	ds_read_b32 v70, v4 offset:18784                           // 000000005128: D86C4960 46000004
	ds_read_b32 v71, v4 offset:23136                           // 000000005130: D86C5A60 47000004
	v_mfma_f32_16x16x32_fp8_fp8 v[172:175], a[6:7], v[146:147], v[172:175]// 000000005138: D3F300AC 0EB32506
	v_mfma_f32_16x16x32_fp8_fp8 v[176:179], a[8:9], v[128:129], 0// 000000005140: D3F300B0 0A030108
	ds_read_b32 v72, v4 offset:27392                           // 000000005148: D86C6B00 48000004
	ds_read_b32 v73, v4 offset:31744                           // 000000005150: D86C7C00 49000004
	v_mfma_f32_16x16x32_fp8_fp8 v[176:179], a[10:11], v[130:131], v[176:179]// 000000005158: D3F300B0 0EC3050A
	buffer_load_dwordx4 a[72:75], v38, s[12:15], 0 offen       // 000000005160: E05C1000 80834826
	v_mfma_f32_16x16x32_fp8_fp8 v[180:183], a[8:9], v[144:145], 0// 000000005168: D3F300B4 0A032108
	ds_read_b32 v74, v4 offset:27424                           // 000000005170: D86C6B20 4A000004
	ds_read_b32 v75, v4 offset:31776                           // 000000005178: D86C7C20 4B000004
	v_mfma_f32_16x16x32_fp8_fp8 v[180:183], a[10:11], v[146:147], v[180:183]// 000000005180: D3F300B4 0ED3250A
	v_mfma_f32_16x16x32_fp8_fp8 v[184:187], a[12:13], v[128:129], 0// 000000005188: D3F300B8 0A03010C
	ds_read_b32 v76, v4 offset:27456                           // 000000005190: D86C6B40 4C000004
	ds_read_b32 v77, v4 offset:31808                           // 000000005198: D86C7C40 4D000004
	v_mfma_f32_16x16x32_fp8_fp8 v[184:187], a[14:15], v[130:131], v[184:187]// 0000000051A0: D3F300B8 0EE3050E
	buffer_load_dwordx4 a[76:79], v39, s[12:15], 0 offen       // 0000000051A8: E05C1000 80834C27
	s_add_u32 s12, s78, s12                                    // 0000000051B0: 800C0C4E
	s_addc_u32 s13, 0, s13                                     // 0000000051B4: 820D0D80
	v_mfma_f32_16x16x32_fp8_fp8 v[188:191], a[12:13], v[144:145], 0// 0000000051B8: D3F300BC 0A03210C
	ds_read_b32 v78, v4 offset:27488                           // 0000000051C0: D86C6B60 4E000004
	ds_read_b32 v79, v4 offset:31840                           // 0000000051C8: D86C7C60 4F000004
	v_mfma_f32_16x16x32_fp8_fp8 v[188:191], a[14:15], v[146:147], v[188:191]// 0000000051D0: D3F300BC 0EF3250E
	s_waitcnt vmcnt(13)                                        // 0000000051D8: BF8C0F7D
	v_mfma_f32_16x16x32_fp8_fp8 v[160:163], a[16:17], v[132:133], v[160:163]// 0000000051DC: D3F300A0 0E830910
	v_mfma_f32_16x16x32_fp8_fp8 v[160:163], a[18:19], v[134:135], v[160:163]// 0000000051E4: D3F300A0 0E830D12
	buffer_load_dwordx4 a[80:83], v36, s[12:15], 0 offen       // 0000000051EC: E05C1000 80835024
	v_mfma_f32_16x16x32_fp8_fp8 v[164:167], a[16:17], v[148:149], v[164:167]// 0000000051F4: D3F300A4 0E932910
	v_mfma_f32_16x16x32_fp8_fp8 v[164:167], a[18:19], v[150:151], v[164:167]// 0000000051FC: D3F300A4 0E932D12
	v_mfma_f32_16x16x32_fp8_fp8 v[168:171], a[20:21], v[132:133], v[168:171]// 000000005204: D3F300A8 0EA30914
	v_mfma_f32_16x16x32_fp8_fp8 v[168:171], a[22:23], v[134:135], v[168:171]// 00000000520C: D3F300A8 0EA30D16
	buffer_load_dwordx4 a[84:87], v37, s[12:15], 0 offen       // 000000005214: E05C1000 80835425
	v_mfma_f32_16x16x32_fp8_fp8 v[172:175], a[20:21], v[148:149], v[172:175]// 00000000521C: D3F300AC 0EB32914
	v_mfma_f32_16x16x32_fp8_fp8 v[172:175], a[22:23], v[150:151], v[172:175]// 000000005224: D3F300AC 0EB32D16
	v_mfma_f32_16x16x32_fp8_fp8 v[176:179], a[24:25], v[132:133], v[176:179]// 00000000522C: D3F300B0 0EC30918
	v_mfma_f32_16x16x32_fp8_fp8 v[176:179], a[26:27], v[134:135], v[176:179]// 000000005234: D3F300B0 0EC30D1A
	buffer_load_dwordx4 a[88:91], v38, s[12:15], 0 offen       // 00000000523C: E05C1000 80835826
	v_mfma_f32_16x16x32_fp8_fp8 v[180:183], a[24:25], v[148:149], v[180:183]// 000000005244: D3F300B4 0ED32918
	v_mfma_f32_16x16x32_fp8_fp8 v[180:183], a[26:27], v[150:151], v[180:183]// 00000000524C: D3F300B4 0ED32D1A
	v_mfma_f32_16x16x32_fp8_fp8 v[184:187], a[28:29], v[132:133], v[184:187]// 000000005254: D3F300B8 0EE3091C
	v_mfma_f32_16x16x32_fp8_fp8 v[184:187], a[30:31], v[134:135], v[184:187]// 00000000525C: D3F300B8 0EE30D1E
	buffer_load_dwordx4 a[92:95], v39, s[12:15], 0 offen       // 000000005264: E05C1000 80835C27
	s_add_u32 s12, s78, s12                                    // 00000000526C: 800C0C4E
	s_addc_u32 s13, 0, s13                                     // 000000005270: 820D0D80
	v_mfma_f32_16x16x32_fp8_fp8 v[188:191], a[28:29], v[148:149], v[188:191]// 000000005274: D3F300BC 0EF3291C
	v_mfma_f32_16x16x32_fp8_fp8 v[188:191], a[30:31], v[150:151], v[188:191]// 00000000527C: D3F300BC 0EF32D1E
	s_waitcnt vmcnt(13)                                        // 000000005284: BF8C0F7D
	v_mfma_f32_16x16x32_fp8_fp8 v[160:163], a[32:33], v[136:137], v[160:163]// 000000005288: D3F300A0 0E831120
	ds_write_b64 v3, v[192:193] offset:36096                   // 000000005290: D89A8D00 0000C003
	v_mfma_f32_16x16x32_fp8_fp8 v[160:163], a[34:35], v[138:139], v[160:163]// 000000005298: D3F300A0 0E831522
	buffer_load_dwordx4 a[96:99], v36, s[12:15], 0 offen       // 0000000052A0: E05C1000 80836024
	v_mfma_f32_16x16x32_fp8_fp8 v[164:167], a[32:33], v[152:153], v[164:167]// 0000000052A8: D3F300A4 0E933120
	ds_write_b64 v3, v[194:195] offset:44800                   // 0000000052B0: D89AAF00 0000C203
	v_mfma_f32_16x16x32_fp8_fp8 v[164:167], a[34:35], v[154:155], v[164:167]// 0000000052B8: D3F300A4 0E933522
	v_mfma_f32_16x16x32_fp8_fp8 v[168:171], a[36:37], v[136:137], v[168:171]// 0000000052C0: D3F300A8 0EA31124
	ds_write_b64 v3, v[196:197] offset:38272                   // 0000000052C8: D89A9580 0000C403
	v_mfma_f32_16x16x32_fp8_fp8 v[168:171], a[38:39], v[138:139], v[168:171]// 0000000052D0: D3F300A8 0EA31526
	buffer_load_dwordx4 a[100:103], v37, s[12:15], 0 offen     // 0000000052D8: E05C1000 80836425
	v_mfma_f32_16x16x32_fp8_fp8 v[172:175], a[36:37], v[152:153], v[172:175]// 0000000052E0: D3F300AC 0EB33124
	ds_write_b64 v3, v[198:199] offset:46976                   // 0000000052E8: D89AB780 0000C603
	v_mfma_f32_16x16x32_fp8_fp8 v[172:175], a[38:39], v[154:155], v[172:175]// 0000000052F0: D3F300AC 0EB33526
	v_mfma_f32_16x16x32_fp8_fp8 v[176:179], a[40:41], v[136:137], v[176:179]// 0000000052F8: D3F300B0 0EC31128
	ds_write_b64 v3, v[200:201] offset:40448                   // 000000005300: D89A9E00 0000C803
	v_mfma_f32_16x16x32_fp8_fp8 v[176:179], a[42:43], v[138:139], v[176:179]// 000000005308: D3F300B0 0EC3152A
	buffer_load_dwordx4 a[104:107], v38, s[12:15], 0 offen     // 000000005310: E05C1000 80836826
	v_mfma_f32_16x16x32_fp8_fp8 v[180:183], a[40:41], v[152:153], v[180:183]// 000000005318: D3F300B4 0ED33128
	ds_write_b64 v3, v[202:203] offset:49152                   // 000000005320: D89AC000 0000CA03
	v_mfma_f32_16x16x32_fp8_fp8 v[180:183], a[42:43], v[154:155], v[180:183]// 000000005328: D3F300B4 0ED3352A
	v_mfma_f32_16x16x32_fp8_fp8 v[184:187], a[44:45], v[136:137], v[184:187]// 000000005330: D3F300B8 0EE3112C
	ds_write_b64 v3, v[204:205] offset:42624                   // 000000005338: D89AA680 0000CC03
	v_mfma_f32_16x16x32_fp8_fp8 v[184:187], a[46:47], v[138:139], v[184:187]// 000000005340: D3F300B8 0EE3152E
	buffer_load_dwordx4 a[108:111], v39, s[12:15], 0 offen     // 000000005348: E05C1000 80836C27
	s_add_u32 s12, s78, s12                                    // 000000005350: 800C0C4E
	s_addc_u32 s13, 0, s13                                     // 000000005354: 820D0D80
	v_mfma_f32_16x16x32_fp8_fp8 v[188:191], a[44:45], v[152:153], v[188:191]// 000000005358: D3F300BC 0EF3312C
	ds_write_b64 v3, v[206:207] offset:51328                   // 000000005360: D89AC880 0000CE03
	v_mfma_f32_16x16x32_fp8_fp8 v[188:191], a[46:47], v[154:155], v[188:191]// 000000005368: D3F300BC 0EF3352E
	s_waitcnt vmcnt(12)                                        // 000000005370: BF8C0F7C
	v_mfma_f32_16x16x32_fp8_fp8 v[160:163], a[48:49], v[140:141], v[160:163]// 000000005374: D3F300A0 0E831930
	v_mfma_f32_16x16x32_fp8_fp8 v[160:163], a[50:51], v[142:143], v[160:163]// 00000000537C: D3F300A0 0E831D32
	buffer_load_dwordx4 a[112:115], v36, s[12:15], 0 offen     // 000000005384: E05C1000 80837024
	v_mfma_f32_16x16x32_fp8_fp8 v[164:167], a[48:49], v[156:157], v[164:167]// 00000000538C: D3F300A4 0E933930
	v_mfma_f32_16x16x32_fp8_fp8 v[164:167], a[50:51], v[158:159], v[164:167]// 000000005394: D3F300A4 0E933D32
	buffer_load_dword v12, v5, s[16:19], 0 offen               // 00000000539C: E0501000 80040C05
	v_mfma_f32_16x16x32_fp8_fp8 v[168:171], a[52:53], v[140:141], v[168:171]// 0000000053A4: D3F300A8 0EA31934
	v_mfma_f32_16x16x32_fp8_fp8 v[168:171], a[54:55], v[142:143], v[168:171]// 0000000053AC: D3F300A8 0EA31D36
	buffer_load_dwordx4 a[116:119], v37, s[12:15], 0 offen     // 0000000053B4: E05C1000 80837425
	v_mfma_f32_16x16x32_fp8_fp8 v[172:175], a[52:53], v[156:157], v[172:175]// 0000000053BC: D3F300AC 0EB33934
	v_mfma_f32_16x16x32_fp8_fp8 v[172:175], a[54:55], v[158:159], v[172:175]// 0000000053C4: D3F300AC 0EB33D36
	v_mfma_f32_16x16x32_fp8_fp8 v[176:179], a[56:57], v[140:141], v[176:179]// 0000000053CC: D3F300B0 0EC31938
	v_mfma_f32_16x16x32_fp8_fp8 v[176:179], a[58:59], v[142:143], v[176:179]// 0000000053D4: D3F300B0 0EC31D3A
	buffer_load_dwordx4 a[120:123], v38, s[12:15], 0 offen     // 0000000053DC: E05C1000 80837826
	v_mfma_f32_16x16x32_fp8_fp8 v[180:183], a[56:57], v[156:157], v[180:183]// 0000000053E4: D3F300B4 0ED33938
	v_mfma_f32_16x16x32_fp8_fp8 v[180:183], a[58:59], v[158:159], v[180:183]// 0000000053EC: D3F300B4 0ED33D3A
	v_mfma_f32_16x16x32_fp8_fp8 v[184:187], a[60:61], v[140:141], v[184:187]// 0000000053F4: D3F300B8 0EE3193C
	v_mfma_f32_16x16x32_fp8_fp8 v[184:187], a[62:63], v[142:143], v[184:187]// 0000000053FC: D3F300B8 0EE31D3E
	buffer_load_dwordx4 a[124:127], v39, s[12:15], 0 offen     // 000000005404: E05C1000 80837C27
	v_mfma_f32_16x16x32_fp8_fp8 v[188:191], a[60:61], v[156:157], v[188:191]// 00000000540C: D3F300BC 0EF3393C
	v_mfma_f32_16x16x32_fp8_fp8 v[188:191], a[62:63], v[158:159], v[188:191]// 000000005414: D3F300BC 0EF33D3E
	s_add_u32 s60, 0x200, s80                                  // 00000000541C: 803C50FF 00000200
	s_cmp_lt_u32 s60, s81                                      // 000000005424: BF0A513C
	s_cselect_b32 s56, s56, 0                                  // 000000005428: 85388038
	s_cselect_b32 s78, s78, 0                                  // 00000000542C: 854E804E
	s_cselect_b32 s79, s79, 0                                  // 000000005430: 854F804F
	s_add_u32 s12, s56, s12                                    // 000000005434: 800C0C38
	s_addc_u32 s13, 0, s13                                     // 000000005438: 820D0D80
	s_add_u32 s16, s79, s16                                    // 00000000543C: 8010104F
	s_addc_u32 s17, 0, s17                                     // 000000005440: 82111180
	v_mul_f32_e32 v160, v22, v160                              // 000000005444: 0B414116
	v_mul_f32_e32 v161, v22, v161                              // 000000005448: 0B434316
	v_mul_f32_e32 v162, v22, v162                              // 00000000544C: 0B454516
	v_mul_f32_e32 v163, v22, v163                              // 000000005450: 0B474716
	v_mul_f32_dpp v160, v11, v160 row_newbcast:0 row_mask:0xf bank_mask:0xf// 000000005454: 0B4140FA FF01500B
	v_mul_f32_dpp v161, v11, v161 row_newbcast:1 row_mask:0xf bank_mask:0xf// 00000000545C: 0B4342FA FF01510B
	v_mul_f32_dpp v162, v11, v162 row_newbcast:2 row_mask:0xf bank_mask:0xf// 000000005464: 0B4544FA FF01520B
	v_mul_f32_dpp v163, v11, v163 row_newbcast:3 row_mask:0xf bank_mask:0xf// 00000000546C: 0B4746FA FF01530B
	v_mul_f32_e32 v160, v17, v160                              // 000000005474: 0B414111
	v_mul_f32_e32 v161, v17, v161                              // 000000005478: 0B434311
	v_mul_f32_e32 v162, v17, v162                              // 00000000547C: 0B454511
	v_mul_f32_e32 v163, v17, v163                              // 000000005480: 0B474711
	v_mul_f32_e32 v164, v23, v164                              // 000000005484: 0B494917
	v_mul_f32_e32 v165, v23, v165                              // 000000005488: 0B4B4B17
	v_mul_f32_e32 v166, v23, v166                              // 00000000548C: 0B4D4D17
	v_mul_f32_e32 v167, v23, v167                              // 000000005490: 0B4F4F17
	v_mul_f32_dpp v164, v11, v164 row_newbcast:0 row_mask:0xf bank_mask:0xf// 000000005494: 0B4948FA FF01500B
	v_mul_f32_dpp v165, v11, v165 row_newbcast:1 row_mask:0xf bank_mask:0xf// 00000000549C: 0B4B4AFA FF01510B
	v_mul_f32_dpp v166, v11, v166 row_newbcast:2 row_mask:0xf bank_mask:0xf// 0000000054A4: 0B4D4CFA FF01520B
	v_mul_f32_dpp v167, v11, v167 row_newbcast:3 row_mask:0xf bank_mask:0xf// 0000000054AC: 0B4F4EFA FF01530B
	v_mul_f32_e32 v164, v18, v164                              // 0000000054B4: 0B494912
	v_mul_f32_e32 v165, v18, v165                              // 0000000054B8: 0B4B4B12
	v_mul_f32_e32 v166, v18, v166                              // 0000000054BC: 0B4D4D12
	v_mul_f32_e32 v167, v18, v167                              // 0000000054C0: 0B4F4F12
	v_mul_f32_e32 v168, v22, v168                              // 0000000054C4: 0B515116
	v_mul_f32_e32 v169, v22, v169                              // 0000000054C8: 0B535316
	v_mul_f32_e32 v170, v22, v170                              // 0000000054CC: 0B555516
	v_mul_f32_e32 v171, v22, v171                              // 0000000054D0: 0B575716
	v_mul_f32_dpp v168, v11, v168 row_newbcast:4 row_mask:0xf bank_mask:0xf// 0000000054D4: 0B5150FA FF01540B
	v_mul_f32_dpp v169, v11, v169 row_newbcast:5 row_mask:0xf bank_mask:0xf// 0000000054DC: 0B5352FA FF01550B
	v_mul_f32_dpp v170, v11, v170 row_newbcast:6 row_mask:0xf bank_mask:0xf// 0000000054E4: 0B5554FA FF01560B
	v_mul_f32_dpp v171, v11, v171 row_newbcast:7 row_mask:0xf bank_mask:0xf// 0000000054EC: 0B5756FA FF01570B
	v_mul_f32_e32 v168, v17, v168                              // 0000000054F4: 0B515111
	v_mul_f32_e32 v169, v17, v169                              // 0000000054F8: 0B535311
	v_mul_f32_e32 v170, v17, v170                              // 0000000054FC: 0B555511
	v_mul_f32_e32 v171, v17, v171                              // 000000005500: 0B575711
	v_mul_f32_e32 v172, v23, v172                              // 000000005504: 0B595917
	v_mul_f32_e32 v173, v23, v173                              // 000000005508: 0B5B5B17
	v_mul_f32_e32 v174, v23, v174                              // 00000000550C: 0B5D5D17
	v_mul_f32_e32 v175, v23, v175                              // 000000005510: 0B5F5F17
	v_mul_f32_dpp v172, v11, v172 row_newbcast:4 row_mask:0xf bank_mask:0xf// 000000005514: 0B5958FA FF01540B
	v_mul_f32_dpp v173, v11, v173 row_newbcast:5 row_mask:0xf bank_mask:0xf// 00000000551C: 0B5B5AFA FF01550B
	v_mul_f32_dpp v174, v11, v174 row_newbcast:6 row_mask:0xf bank_mask:0xf// 000000005524: 0B5D5CFA FF01560B
	v_mul_f32_dpp v175, v11, v175 row_newbcast:7 row_mask:0xf bank_mask:0xf// 00000000552C: 0B5F5EFA FF01570B
	v_mul_f32_e32 v172, v18, v172                              // 000000005534: 0B595912
	v_mul_f32_e32 v173, v18, v173                              // 000000005538: 0B5B5B12
	v_mul_f32_e32 v174, v18, v174                              // 00000000553C: 0B5D5D12
	v_mul_f32_e32 v175, v18, v175                              // 000000005540: 0B5F5F12
	v_mul_f32_e32 v176, v22, v176                              // 000000005544: 0B616116
	v_mul_f32_e32 v177, v22, v177                              // 000000005548: 0B636316
	v_mul_f32_e32 v178, v22, v178                              // 00000000554C: 0B656516
	v_mul_f32_e32 v179, v22, v179                              // 000000005550: 0B676716
	v_mul_f32_dpp v176, v11, v176 row_newbcast:8 row_mask:0xf bank_mask:0xf// 000000005554: 0B6160FA FF01580B
	v_mul_f32_dpp v177, v11, v177 row_newbcast:9 row_mask:0xf bank_mask:0xf// 00000000555C: 0B6362FA FF01590B
	v_mul_f32_dpp v178, v11, v178 row_newbcast:10 row_mask:0xf bank_mask:0xf// 000000005564: 0B6564FA FF015A0B
	v_mul_f32_dpp v179, v11, v179 row_newbcast:11 row_mask:0xf bank_mask:0xf// 00000000556C: 0B6766FA FF015B0B
	v_mul_f32_e32 v176, v17, v176                              // 000000005574: 0B616111
	v_mul_f32_e32 v177, v17, v177                              // 000000005578: 0B636311
	v_mul_f32_e32 v178, v17, v178                              // 00000000557C: 0B656511
	v_mul_f32_e32 v179, v17, v179                              // 000000005580: 0B676711
	v_mul_f32_e32 v180, v23, v180                              // 000000005584: 0B696917
	v_mul_f32_e32 v181, v23, v181                              // 000000005588: 0B6B6B17
	v_mul_f32_e32 v182, v23, v182                              // 00000000558C: 0B6D6D17
	v_mul_f32_e32 v183, v23, v183                              // 000000005590: 0B6F6F17
	v_mul_f32_dpp v180, v11, v180 row_newbcast:8 row_mask:0xf bank_mask:0xf// 000000005594: 0B6968FA FF01580B
	v_mul_f32_dpp v181, v11, v181 row_newbcast:9 row_mask:0xf bank_mask:0xf// 00000000559C: 0B6B6AFA FF01590B
	v_mul_f32_dpp v182, v11, v182 row_newbcast:10 row_mask:0xf bank_mask:0xf// 0000000055A4: 0B6D6CFA FF015A0B
	v_mul_f32_dpp v183, v11, v183 row_newbcast:11 row_mask:0xf bank_mask:0xf// 0000000055AC: 0B6F6EFA FF015B0B
	v_mul_f32_e32 v180, v18, v180                              // 0000000055B4: 0B696912
	v_mul_f32_e32 v181, v18, v181                              // 0000000055B8: 0B6B6B12
	v_mul_f32_e32 v182, v18, v182                              // 0000000055BC: 0B6D6D12
	v_mul_f32_e32 v183, v18, v183                              // 0000000055C0: 0B6F6F12
	v_mul_f32_e32 v184, v22, v184                              // 0000000055C4: 0B717116
	v_mul_f32_e32 v185, v22, v185                              // 0000000055C8: 0B737316
	v_mul_f32_e32 v186, v22, v186                              // 0000000055CC: 0B757516
	v_mul_f32_e32 v187, v22, v187                              // 0000000055D0: 0B777716
	v_mul_f32_dpp v184, v11, v184 row_newbcast:12 row_mask:0xf bank_mask:0xf// 0000000055D4: 0B7170FA FF015C0B
	v_mul_f32_dpp v185, v11, v185 row_newbcast:13 row_mask:0xf bank_mask:0xf// 0000000055DC: 0B7372FA FF015D0B
	v_mul_f32_dpp v186, v11, v186 row_newbcast:14 row_mask:0xf bank_mask:0xf// 0000000055E4: 0B7574FA FF015E0B
	v_mul_f32_dpp v187, v11, v187 row_newbcast:15 row_mask:0xf bank_mask:0xf// 0000000055EC: 0B7776FA FF015F0B
	v_mul_f32_e32 v184, v17, v184                              // 0000000055F4: 0B717111
	v_mul_f32_e32 v185, v17, v185                              // 0000000055F8: 0B737311
	v_mul_f32_e32 v186, v17, v186                              // 0000000055FC: 0B757511
	v_mul_f32_e32 v187, v17, v187                              // 000000005600: 0B777711
	v_mul_f32_e32 v188, v23, v188                              // 000000005604: 0B797917
	v_mul_f32_e32 v189, v23, v189                              // 000000005608: 0B7B7B17
	v_mul_f32_e32 v190, v23, v190                              // 00000000560C: 0B7D7D17
	v_mul_f32_e32 v191, v23, v191                              // 000000005610: 0B7F7F17
	v_mul_f32_dpp v188, v11, v188 row_newbcast:12 row_mask:0xf bank_mask:0xf// 000000005614: 0B7978FA FF015C0B
	v_mul_f32_dpp v189, v11, v189 row_newbcast:13 row_mask:0xf bank_mask:0xf// 00000000561C: 0B7B7AFA FF015D0B
	v_mul_f32_dpp v190, v11, v190 row_newbcast:14 row_mask:0xf bank_mask:0xf// 000000005624: 0B7D7CFA FF015E0B
	v_mul_f32_dpp v191, v11, v191 row_newbcast:15 row_mask:0xf bank_mask:0xf// 00000000562C: 0B7F7EFA FF015F0B
	v_mul_f32_e32 v188, v18, v188                              // 000000005634: 0B797912
	v_mul_f32_e32 v189, v18, v189                              // 000000005638: 0B7B7B12
	v_mul_f32_e32 v190, v18, v190                              // 00000000563C: 0B7D7D12
	v_mul_f32_e32 v191, v18, v191                              // 000000005640: 0B7F7F12
	v_cmp_u_f32_e64 s[48:49], v160, v160                       // 000000005644: D0480030 000341A0
	v_add3_u32 v40, v160, v43, 1                               // 00000000564C: D1FF0028 020657A0
	v_cndmask_b32_e64 v46, v40, v42, s[48:49]                  // 000000005654: D100002E 00C25528
	v_cmp_u_f32_e64 s[48:49], v161, v161                       // 00000000565C: D0480030 000343A1
	v_add3_u32 v40, v161, v43, 1                               // 000000005664: D1FF0028 020657A1
	v_cndmask_b32_e64 v47, v40, v42, s[48:49]                  // 00000000566C: D100002F 00C25528
	v_perm_b32 v160, v47, v46, s52                             // 000000005674: D1ED00A0 00D25D2F
	v_cmp_u_f32_e64 s[48:49], v162, v162                       // 00000000567C: D0480030 000345A2
	v_add3_u32 v40, v162, v43, 1                               // 000000005684: D1FF0028 020657A2
	v_cndmask_b32_e64 v46, v40, v42, s[48:49]                  // 00000000568C: D100002E 00C25528
	v_cmp_u_f32_e64 s[48:49], v163, v163                       // 000000005694: D0480030 000347A3
	v_add3_u32 v40, v163, v43, 1                               // 00000000569C: D1FF0028 020657A3
	v_cndmask_b32_e64 v47, v40, v42, s[48:49]                  // 0000000056A4: D100002F 00C25528
	v_perm_b32 v161, v47, v46, s52                             // 0000000056AC: D1ED00A1 00D25D2F
	v_cmp_u_f32_e64 s[48:49], v164, v164                       // 0000000056B4: D0480030 000349A4
	v_add3_u32 v40, v164, v43, 1                               // 0000000056BC: D1FF0028 020657A4
	v_cndmask_b32_e64 v46, v40, v42, s[48:49]                  // 0000000056C4: D100002E 00C25528
	v_cmp_u_f32_e64 s[48:49], v165, v165                       // 0000000056CC: D0480030 00034BA5
	v_add3_u32 v40, v165, v43, 1                               // 0000000056D4: D1FF0028 020657A5
	v_cndmask_b32_e64 v47, v40, v42, s[48:49]                  // 0000000056DC: D100002F 00C25528
	v_perm_b32 v162, v47, v46, s52                             // 0000000056E4: D1ED00A2 00D25D2F
	v_cmp_u_f32_e64 s[48:49], v166, v166                       // 0000000056EC: D0480030 00034DA6
	v_add3_u32 v40, v166, v43, 1                               // 0000000056F4: D1FF0028 020657A6
	v_cndmask_b32_e64 v46, v40, v42, s[48:49]                  // 0000000056FC: D100002E 00C25528
	v_cmp_u_f32_e64 s[48:49], v167, v167                       // 000000005704: D0480030 00034FA7
	v_add3_u32 v40, v167, v43, 1                               // 00000000570C: D1FF0028 020657A7
	v_cndmask_b32_e64 v47, v40, v42, s[48:49]                  // 000000005714: D100002F 00C25528
	v_perm_b32 v163, v47, v46, s52                             // 00000000571C: D1ED00A3 00D25D2F
	v_cmp_u_f32_e64 s[48:49], v168, v168                       // 000000005724: D0480030 000351A8
	v_add3_u32 v40, v168, v43, 1                               // 00000000572C: D1FF0028 020657A8
	v_cndmask_b32_e64 v46, v40, v42, s[48:49]                  // 000000005734: D100002E 00C25528
	v_cmp_u_f32_e64 s[48:49], v169, v169                       // 00000000573C: D0480030 000353A9
	v_add3_u32 v40, v169, v43, 1                               // 000000005744: D1FF0028 020657A9
	v_cndmask_b32_e64 v47, v40, v42, s[48:49]                  // 00000000574C: D100002F 00C25528
	v_perm_b32 v164, v47, v46, s52                             // 000000005754: D1ED00A4 00D25D2F
	v_cmp_u_f32_e64 s[48:49], v170, v170                       // 00000000575C: D0480030 000355AA
	v_add3_u32 v40, v170, v43, 1                               // 000000005764: D1FF0028 020657AA
	v_cndmask_b32_e64 v46, v40, v42, s[48:49]                  // 00000000576C: D100002E 00C25528
	v_cmp_u_f32_e64 s[48:49], v171, v171                       // 000000005774: D0480030 000357AB
	v_add3_u32 v40, v171, v43, 1                               // 00000000577C: D1FF0028 020657AB
	v_cndmask_b32_e64 v47, v40, v42, s[48:49]                  // 000000005784: D100002F 00C25528
	v_perm_b32 v165, v47, v46, s52                             // 00000000578C: D1ED00A5 00D25D2F
	v_cmp_u_f32_e64 s[48:49], v172, v172                       // 000000005794: D0480030 000359AC
	v_add3_u32 v40, v172, v43, 1                               // 00000000579C: D1FF0028 020657AC
	v_cndmask_b32_e64 v46, v40, v42, s[48:49]                  // 0000000057A4: D100002E 00C25528
	v_cmp_u_f32_e64 s[48:49], v173, v173                       // 0000000057AC: D0480030 00035BAD
	v_add3_u32 v40, v173, v43, 1                               // 0000000057B4: D1FF0028 020657AD
	v_cndmask_b32_e64 v47, v40, v42, s[48:49]                  // 0000000057BC: D100002F 00C25528
	v_perm_b32 v166, v47, v46, s52                             // 0000000057C4: D1ED00A6 00D25D2F
	v_cmp_u_f32_e64 s[48:49], v174, v174                       // 0000000057CC: D0480030 00035DAE
	v_add3_u32 v40, v174, v43, 1                               // 0000000057D4: D1FF0028 020657AE
	v_cndmask_b32_e64 v46, v40, v42, s[48:49]                  // 0000000057DC: D100002E 00C25528
	v_cmp_u_f32_e64 s[48:49], v175, v175                       // 0000000057E4: D0480030 00035FAF
	v_add3_u32 v40, v175, v43, 1                               // 0000000057EC: D1FF0028 020657AF
	v_cndmask_b32_e64 v47, v40, v42, s[48:49]                  // 0000000057F4: D100002F 00C25528
	v_perm_b32 v167, v47, v46, s52                             // 0000000057FC: D1ED00A7 00D25D2F
	v_cmp_u_f32_e64 s[48:49], v176, v176                       // 000000005804: D0480030 000361B0
	v_add3_u32 v40, v176, v43, 1                               // 00000000580C: D1FF0028 020657B0
	v_cndmask_b32_e64 v46, v40, v42, s[48:49]                  // 000000005814: D100002E 00C25528
	v_cmp_u_f32_e64 s[48:49], v177, v177                       // 00000000581C: D0480030 000363B1
	v_add3_u32 v40, v177, v43, 1                               // 000000005824: D1FF0028 020657B1
	v_cndmask_b32_e64 v47, v40, v42, s[48:49]                  // 00000000582C: D100002F 00C25528
	v_perm_b32 v168, v47, v46, s52                             // 000000005834: D1ED00A8 00D25D2F
	v_cmp_u_f32_e64 s[48:49], v178, v178                       // 00000000583C: D0480030 000365B2
	v_add3_u32 v40, v178, v43, 1                               // 000000005844: D1FF0028 020657B2
	v_cndmask_b32_e64 v46, v40, v42, s[48:49]                  // 00000000584C: D100002E 00C25528
	v_cmp_u_f32_e64 s[48:49], v179, v179                       // 000000005854: D0480030 000367B3
	v_add3_u32 v40, v179, v43, 1                               // 00000000585C: D1FF0028 020657B3
	v_cndmask_b32_e64 v47, v40, v42, s[48:49]                  // 000000005864: D100002F 00C25528
	v_perm_b32 v169, v47, v46, s52                             // 00000000586C: D1ED00A9 00D25D2F
	v_cmp_u_f32_e64 s[48:49], v180, v180                       // 000000005874: D0480030 000369B4
	v_add3_u32 v40, v180, v43, 1                               // 00000000587C: D1FF0028 020657B4
	v_cndmask_b32_e64 v46, v40, v42, s[48:49]                  // 000000005884: D100002E 00C25528
	v_cmp_u_f32_e64 s[48:49], v181, v181                       // 00000000588C: D0480030 00036BB5
	v_add3_u32 v40, v181, v43, 1                               // 000000005894: D1FF0028 020657B5
	v_cndmask_b32_e64 v47, v40, v42, s[48:49]                  // 00000000589C: D100002F 00C25528
	v_perm_b32 v170, v47, v46, s52                             // 0000000058A4: D1ED00AA 00D25D2F
	v_cmp_u_f32_e64 s[48:49], v182, v182                       // 0000000058AC: D0480030 00036DB6
	v_add3_u32 v40, v182, v43, 1                               // 0000000058B4: D1FF0028 020657B6
	v_cndmask_b32_e64 v46, v40, v42, s[48:49]                  // 0000000058BC: D100002E 00C25528
	v_cmp_u_f32_e64 s[48:49], v183, v183                       // 0000000058C4: D0480030 00036FB7
	v_add3_u32 v40, v183, v43, 1                               // 0000000058CC: D1FF0028 020657B7
	v_cndmask_b32_e64 v47, v40, v42, s[48:49]                  // 0000000058D4: D100002F 00C25528
	v_perm_b32 v171, v47, v46, s52                             // 0000000058DC: D1ED00AB 00D25D2F
	v_cmp_u_f32_e64 s[48:49], v184, v184                       // 0000000058E4: D0480030 000371B8
	v_add3_u32 v40, v184, v43, 1                               // 0000000058EC: D1FF0028 020657B8
	v_cndmask_b32_e64 v46, v40, v42, s[48:49]                  // 0000000058F4: D100002E 00C25528
	v_cmp_u_f32_e64 s[48:49], v185, v185                       // 0000000058FC: D0480030 000373B9
	v_add3_u32 v40, v185, v43, 1                               // 000000005904: D1FF0028 020657B9
	v_cndmask_b32_e64 v47, v40, v42, s[48:49]                  // 00000000590C: D100002F 00C25528
	v_perm_b32 v172, v47, v46, s52                             // 000000005914: D1ED00AC 00D25D2F
	v_cmp_u_f32_e64 s[48:49], v186, v186                       // 00000000591C: D0480030 000375BA
	v_add3_u32 v40, v186, v43, 1                               // 000000005924: D1FF0028 020657BA
	v_cndmask_b32_e64 v46, v40, v42, s[48:49]                  // 00000000592C: D100002E 00C25528
	v_cmp_u_f32_e64 s[48:49], v187, v187                       // 000000005934: D0480030 000377BB
	v_add3_u32 v40, v187, v43, 1                               // 00000000593C: D1FF0028 020657BB
	v_cndmask_b32_e64 v47, v40, v42, s[48:49]                  // 000000005944: D100002F 00C25528
	v_perm_b32 v173, v47, v46, s52                             // 00000000594C: D1ED00AD 00D25D2F
	v_cmp_u_f32_e64 s[48:49], v188, v188                       // 000000005954: D0480030 000379BC
	v_add3_u32 v40, v188, v43, 1                               // 00000000595C: D1FF0028 020657BC
	v_cndmask_b32_e64 v46, v40, v42, s[48:49]                  // 000000005964: D100002E 00C25528
	v_cmp_u_f32_e64 s[48:49], v189, v189                       // 00000000596C: D0480030 00037BBD
	v_add3_u32 v40, v189, v43, 1                               // 000000005974: D1FF0028 020657BD
	v_cndmask_b32_e64 v47, v40, v42, s[48:49]                  // 00000000597C: D100002F 00C25528
	v_perm_b32 v174, v47, v46, s52                             // 000000005984: D1ED00AE 00D25D2F
	v_cmp_u_f32_e64 s[48:49], v190, v190                       // 00000000598C: D0480030 00037DBE
	v_add3_u32 v40, v190, v43, 1                               // 000000005994: D1FF0028 020657BE
	v_cndmask_b32_e64 v46, v40, v42, s[48:49]                  // 00000000599C: D100002E 00C25528
	v_cmp_u_f32_e64 s[48:49], v191, v191                       // 0000000059A4: D0480030 00037FBF
	v_add3_u32 v40, v191, v43, 1                               // 0000000059AC: D1FF0028 020657BF
	v_cndmask_b32_e64 v47, v40, v42, s[48:49]                  // 0000000059B4: D100002F 00C25528
	v_perm_b32 v175, v47, v46, s52                             // 0000000059BC: D1ED00AF 00D25D2F
	s_cmp_ge_u32 s80, 0x200                                    // 0000000059C4: BF09FF50 00000200
	s_cselect_b32 s59, 0x200, s59                              // 0000000059CC: 853B3BFF 00000200
	s_setvskip s20, 0                                          // 0000000059D4: BF108014
	global_atomic_pk_add_bf16 v80, v64, s[8:9]                 // 0000000059D8: DD488000 00084050
	s_setvskip 0, 0                                            // 0000000059E0: BF108080
	s_setvskip s20, 0                                          // 0000000059E4: BF108014
	global_atomic_pk_add_bf16 v80, v65, s[8:9] offset:256      // 0000000059E8: DD488100 00084150
	s_setvskip 0, 0                                            // 0000000059F0: BF108080
	s_setvskip s20, 1                                          // 0000000059F4: BF108114
	global_atomic_pk_add_bf16 v82, v66, s[8:9]                 // 0000000059F8: DD488000 00084252
	s_setvskip 0, 0                                            // 000000005A00: BF108080
	s_setvskip s20, 1                                          // 000000005A04: BF108114
	global_atomic_pk_add_bf16 v82, v67, s[8:9] offset:256      // 000000005A08: DD488100 00084352
	s_setvskip 0, 0                                            // 000000005A10: BF108080
	s_setvskip s20, 2                                          // 000000005A14: BF108214
	global_atomic_pk_add_bf16 v84, v68, s[8:9]                 // 000000005A18: DD488000 00084454
	s_setvskip 0, 0                                            // 000000005A20: BF108080
	s_setvskip s20, 2                                          // 000000005A24: BF108214
	global_atomic_pk_add_bf16 v84, v69, s[8:9] offset:256      // 000000005A28: DD488100 00084554
	s_setvskip 0, 0                                            // 000000005A30: BF108080
	s_setvskip s20, 3                                          // 000000005A34: BF108314
	global_atomic_pk_add_bf16 v86, v70, s[8:9]                 // 000000005A38: DD488000 00084656
	s_setvskip 0, 0                                            // 000000005A40: BF108080
	s_setvskip s20, 3                                          // 000000005A44: BF108314
	global_atomic_pk_add_bf16 v86, v71, s[8:9] offset:256      // 000000005A48: DD488100 00084756
	s_setvskip 0, 0                                            // 000000005A50: BF108080
	s_setvskip s20, 4                                          // 000000005A54: BF108414
	global_atomic_pk_add_bf16 v88, v72, s[8:9]                 // 000000005A58: DD488000 00084858
	s_setvskip 0, 0                                            // 000000005A60: BF108080
	s_setvskip s20, 4                                          // 000000005A64: BF108414
	global_atomic_pk_add_bf16 v88, v73, s[8:9] offset:256      // 000000005A68: DD488100 00084958
	s_setvskip 0, 0                                            // 000000005A70: BF108080
	s_setvskip s20, 5                                          // 000000005A74: BF108514
	global_atomic_pk_add_bf16 v90, v74, s[8:9]                 // 000000005A78: DD488000 00084A5A
	s_setvskip 0, 0                                            // 000000005A80: BF108080
	s_setvskip s20, 5                                          // 000000005A84: BF108514
	global_atomic_pk_add_bf16 v90, v75, s[8:9] offset:256      // 000000005A88: DD488100 00084B5A
	s_setvskip 0, 0                                            // 000000005A90: BF108080
	s_setvskip s20, 6                                          // 000000005A94: BF108614
	global_atomic_pk_add_bf16 v92, v76, s[8:9]                 // 000000005A98: DD488000 00084C5C
	s_setvskip 0, 0                                            // 000000005AA0: BF108080
	s_setvskip s20, 6                                          // 000000005AA4: BF108614
	global_atomic_pk_add_bf16 v92, v77, s[8:9] offset:256      // 000000005AA8: DD488100 00084D5C
	s_setvskip 0, 0                                            // 000000005AB0: BF108080
	s_setvskip s20, 7                                          // 000000005AB4: BF108714
	global_atomic_pk_add_bf16 v94, v78, s[8:9]                 // 000000005AB8: DD488000 00084E5E
	s_setvskip 0, 0                                            // 000000005AC0: BF108080
	s_setvskip s20, 7                                          // 000000005AC4: BF108714
	global_atomic_pk_add_bf16 v94, v79, s[8:9] offset:256      // 000000005AC8: DD488100 00084F5E
	s_setvskip 0, 0                                            // 000000005AD0: BF108080
	s_add_u32 s8, s59, s8                                      // 000000005AD4: 8008083B
	s_addc_u32 s9, 0, s9                                       // 000000005AD8: 82090980
	s_addk_i32 s80, 0x100                                      // 000000005ADC: B7500100
	s_cmp_lt_i32 s80, s81                                      // 000000005AE0: BF045150
	s_cbranch_scc0 label_0DCB                                  // 000000005AE4: BF840291
	s_waitcnt vmcnt(13) lgkmcnt(0)                             // 000000005AE8: BF8C007D
	s_barrier                                                  // 000000005AEC: BF8A0000
	v_mfma_f32_16x16x32_fp8_fp8 v[192:195], a[64:65], v[128:129], 0// 000000005AF0: D3F300C0 0A030140
	ds_read_b32 v64, v4 offset:36096                           // 000000005AF8: D86C8D00 40000004
	ds_read_b32 v65, v4 offset:40448                           // 000000005B00: D86C9E00 41000004
	v_mfma_f32_16x16x32_fp8_fp8 v[192:195], a[66:67], v[130:131], v[192:195]// 000000005B08: D3F300C0 0F030542
	buffer_load_dwordx4 a[0:3], v36, s[12:15], 0 offen         // 000000005B10: E05C1000 80830024
	v_mfma_f32_16x16x32_fp8_fp8 v[196:199], a[64:65], v[144:145], 0// 000000005B18: D3F300C4 0A032140
	ds_read_b32 v66, v4 offset:36128                           // 000000005B20: D86C8D20 42000004
	ds_read_b32 v67, v4 offset:40480                           // 000000005B28: D86C9E20 43000004
	v_mfma_f32_16x16x32_fp8_fp8 v[196:199], a[66:67], v[146:147], v[196:199]// 000000005B30: D3F300C4 0F132542
	v_mfma_f32_16x16x32_fp8_fp8 v[200:203], a[68:69], v[128:129], 0// 000000005B38: D3F300C8 0A030144
	ds_read_b32 v68, v4 offset:36160                           // 000000005B40: D86C8D40 44000004
	ds_read_b32 v69, v4 offset:40512                           // 000000005B48: D86C9E40 45000004
	v_mfma_f32_16x16x32_fp8_fp8 v[200:203], a[70:71], v[130:131], v[200:203]// 000000005B50: D3F300C8 0F230546
	buffer_load_dwordx4 a[4:7], v37, s[12:15], 0 offen         // 000000005B58: E05C1000 80830425
	v_mfma_f32_16x16x32_fp8_fp8 v[204:207], a[68:69], v[144:145], 0// 000000005B60: D3F300CC 0A032144
	ds_read_b32 v70, v4 offset:36192                           // 000000005B68: D86C8D60 46000004
	ds_read_b32 v71, v4 offset:40544                           // 000000005B70: D86C9E60 47000004
	v_mfma_f32_16x16x32_fp8_fp8 v[204:207], a[70:71], v[146:147], v[204:207]// 000000005B78: D3F300CC 0F332546
	v_mfma_f32_16x16x32_fp8_fp8 v[208:211], a[72:73], v[128:129], 0// 000000005B80: D3F300D0 0A030148
	ds_read_b32 v72, v4 offset:44800                           // 000000005B88: D86CAF00 48000004
	ds_read_b32 v73, v4 offset:49152                           // 000000005B90: D86CC000 49000004
	v_mfma_f32_16x16x32_fp8_fp8 v[208:211], a[74:75], v[130:131], v[208:211]// 000000005B98: D3F300D0 0F43054A
	buffer_load_dwordx4 a[8:11], v38, s[12:15], 0 offen        // 000000005BA0: E05C1000 80830826
	v_mfma_f32_16x16x32_fp8_fp8 v[212:215], a[72:73], v[144:145], 0// 000000005BA8: D3F300D4 0A032148
	ds_read_b32 v74, v4 offset:44832                           // 000000005BB0: D86CAF20 4A000004
	ds_read_b32 v75, v4 offset:49184                           // 000000005BB8: D86CC020 4B000004
	v_mfma_f32_16x16x32_fp8_fp8 v[212:215], a[74:75], v[146:147], v[212:215]// 000000005BC0: D3F300D4 0F53254A
	v_mfma_f32_16x16x32_fp8_fp8 v[216:219], a[76:77], v[128:129], 0// 000000005BC8: D3F300D8 0A03014C
	ds_read_b32 v76, v4 offset:44864                           // 000000005BD0: D86CAF40 4C000004
	ds_read_b32 v77, v4 offset:49216                           // 000000005BD8: D86CC040 4D000004
	v_mfma_f32_16x16x32_fp8_fp8 v[216:219], a[78:79], v[130:131], v[216:219]// 000000005BE0: D3F300D8 0F63054E
	buffer_load_dwordx4 a[12:15], v39, s[12:15], 0 offen       // 000000005BE8: E05C1000 80830C27
	s_add_u32 s12, s78, s12                                    // 000000005BF0: 800C0C4E
	s_addc_u32 s13, 0, s13                                     // 000000005BF4: 820D0D80
	v_mfma_f32_16x16x32_fp8_fp8 v[220:223], a[76:77], v[144:145], 0// 000000005BF8: D3F300DC 0A03214C
	ds_read_b32 v78, v4 offset:44896                           // 000000005C00: D86CAF60 4E000004
	ds_read_b32 v79, v4 offset:49248                           // 000000005C08: D86CC060 4F000004
	v_mfma_f32_16x16x32_fp8_fp8 v[220:223], a[78:79], v[146:147], v[220:223]// 000000005C10: D3F300DC 0F73254E
	s_waitcnt vmcnt(13)                                        // 000000005C18: BF8C0F7D
	v_mfma_f32_16x16x32_fp8_fp8 v[192:195], a[80:81], v[132:133], v[192:195]// 000000005C1C: D3F300C0 0F030950
	v_mfma_f32_16x16x32_fp8_fp8 v[192:195], a[82:83], v[134:135], v[192:195]// 000000005C24: D3F300C0 0F030D52
	buffer_load_dwordx4 a[16:19], v36, s[12:15], 0 offen       // 000000005C2C: E05C1000 80831024
	v_mfma_f32_16x16x32_fp8_fp8 v[196:199], a[80:81], v[148:149], v[196:199]// 000000005C34: D3F300C4 0F132950
	v_mfma_f32_16x16x32_fp8_fp8 v[196:199], a[82:83], v[150:151], v[196:199]// 000000005C3C: D3F300C4 0F132D52
	v_mfma_f32_16x16x32_fp8_fp8 v[200:203], a[84:85], v[132:133], v[200:203]// 000000005C44: D3F300C8 0F230954
	v_mfma_f32_16x16x32_fp8_fp8 v[200:203], a[86:87], v[134:135], v[200:203]// 000000005C4C: D3F300C8 0F230D56
	buffer_load_dwordx4 a[20:23], v37, s[12:15], 0 offen       // 000000005C54: E05C1000 80831425
	v_mfma_f32_16x16x32_fp8_fp8 v[204:207], a[84:85], v[148:149], v[204:207]// 000000005C5C: D3F300CC 0F332954
	v_mfma_f32_16x16x32_fp8_fp8 v[204:207], a[86:87], v[150:151], v[204:207]// 000000005C64: D3F300CC 0F332D56
	v_mfma_f32_16x16x32_fp8_fp8 v[208:211], a[88:89], v[132:133], v[208:211]// 000000005C6C: D3F300D0 0F430958
	v_mfma_f32_16x16x32_fp8_fp8 v[208:211], a[90:91], v[134:135], v[208:211]// 000000005C74: D3F300D0 0F430D5A
	buffer_load_dwordx4 a[24:27], v38, s[12:15], 0 offen       // 000000005C7C: E05C1000 80831826
	v_mfma_f32_16x16x32_fp8_fp8 v[212:215], a[88:89], v[148:149], v[212:215]// 000000005C84: D3F300D4 0F532958
	v_mfma_f32_16x16x32_fp8_fp8 v[212:215], a[90:91], v[150:151], v[212:215]// 000000005C8C: D3F300D4 0F532D5A
	v_mfma_f32_16x16x32_fp8_fp8 v[216:219], a[92:93], v[132:133], v[216:219]// 000000005C94: D3F300D8 0F63095C
	v_mfma_f32_16x16x32_fp8_fp8 v[216:219], a[94:95], v[134:135], v[216:219]// 000000005C9C: D3F300D8 0F630D5E
	buffer_load_dwordx4 a[28:31], v39, s[12:15], 0 offen       // 000000005CA4: E05C1000 80831C27
	s_add_u32 s12, s78, s12                                    // 000000005CAC: 800C0C4E
	s_addc_u32 s13, 0, s13                                     // 000000005CB0: 820D0D80
	v_mfma_f32_16x16x32_fp8_fp8 v[220:223], a[92:93], v[148:149], v[220:223]// 000000005CB4: D3F300DC 0F73295C
	v_mfma_f32_16x16x32_fp8_fp8 v[220:223], a[94:95], v[150:151], v[220:223]// 000000005CBC: D3F300DC 0F732D5E
	s_waitcnt vmcnt(13)                                        // 000000005CC4: BF8C0F7D
	v_mfma_f32_16x16x32_fp8_fp8 v[192:195], a[96:97], v[136:137], v[192:195]// 000000005CC8: D3F300C0 0F031160
	ds_write_b64 v3, v[160:161] offset:18688                   // 000000005CD0: D89A4900 0000A003
	v_mfma_f32_16x16x32_fp8_fp8 v[192:195], a[98:99], v[138:139], v[192:195]// 000000005CD8: D3F300C0 0F031562
	buffer_load_dwordx4 a[32:35], v36, s[12:15], 0 offen       // 000000005CE0: E05C1000 80832024
	v_mfma_f32_16x16x32_fp8_fp8 v[196:199], a[96:97], v[152:153], v[196:199]// 000000005CE8: D3F300C4 0F133160
	ds_write_b64 v3, v[162:163] offset:27392                   // 000000005CF0: D89A6B00 0000A203
	v_mfma_f32_16x16x32_fp8_fp8 v[196:199], a[98:99], v[154:155], v[196:199]// 000000005CF8: D3F300C4 0F133562
	v_mfma_f32_16x16x32_fp8_fp8 v[200:203], a[100:101], v[136:137], v[200:203]// 000000005D00: D3F300C8 0F231164
	ds_write_b64 v3, v[164:165] offset:20864                   // 000000005D08: D89A5180 0000A403
	v_mfma_f32_16x16x32_fp8_fp8 v[200:203], a[102:103], v[138:139], v[200:203]// 000000005D10: D3F300C8 0F231566
	buffer_load_dwordx4 a[36:39], v37, s[12:15], 0 offen       // 000000005D18: E05C1000 80832425
	v_mfma_f32_16x16x32_fp8_fp8 v[204:207], a[100:101], v[152:153], v[204:207]// 000000005D20: D3F300CC 0F333164
	ds_write_b64 v3, v[166:167] offset:29568                   // 000000005D28: D89A7380 0000A603
	v_mfma_f32_16x16x32_fp8_fp8 v[204:207], a[102:103], v[154:155], v[204:207]// 000000005D30: D3F300CC 0F333566
	v_mfma_f32_16x16x32_fp8_fp8 v[208:211], a[104:105], v[136:137], v[208:211]// 000000005D38: D3F300D0 0F431168
	ds_write_b64 v3, v[168:169] offset:23040                   // 000000005D40: D89A5A00 0000A803
	v_mfma_f32_16x16x32_fp8_fp8 v[208:211], a[106:107], v[138:139], v[208:211]// 000000005D48: D3F300D0 0F43156A
	buffer_load_dwordx4 a[40:43], v38, s[12:15], 0 offen       // 000000005D50: E05C1000 80832826
	v_mfma_f32_16x16x32_fp8_fp8 v[212:215], a[104:105], v[152:153], v[212:215]// 000000005D58: D3F300D4 0F533168
	ds_write_b64 v3, v[170:171] offset:31744                   // 000000005D60: D89A7C00 0000AA03
	v_mfma_f32_16x16x32_fp8_fp8 v[212:215], a[106:107], v[154:155], v[212:215]// 000000005D68: D3F300D4 0F53356A
	v_mfma_f32_16x16x32_fp8_fp8 v[216:219], a[108:109], v[136:137], v[216:219]// 000000005D70: D3F300D8 0F63116C
	ds_write_b64 v3, v[172:173] offset:25216                   // 000000005D78: D89A6280 0000AC03
	v_mfma_f32_16x16x32_fp8_fp8 v[216:219], a[110:111], v[138:139], v[216:219]// 000000005D80: D3F300D8 0F63156E
	buffer_load_dwordx4 a[44:47], v39, s[12:15], 0 offen       // 000000005D88: E05C1000 80832C27
	s_add_u32 s12, s78, s12                                    // 000000005D90: 800C0C4E
	s_addc_u32 s13, 0, s13                                     // 000000005D94: 820D0D80
	v_mfma_f32_16x16x32_fp8_fp8 v[220:223], a[108:109], v[152:153], v[220:223]// 000000005D98: D3F300DC 0F73316C
	ds_write_b64 v3, v[174:175] offset:33920                   // 000000005DA0: D89A8480 0000AE03
	v_mfma_f32_16x16x32_fp8_fp8 v[220:223], a[110:111], v[154:155], v[220:223]// 000000005DA8: D3F300DC 0F73356E
	s_waitcnt vmcnt(12)                                        // 000000005DB0: BF8C0F7C
	v_mfma_f32_16x16x32_fp8_fp8 v[192:195], a[112:113], v[140:141], v[192:195]// 000000005DB4: D3F300C0 0F031970
	v_mfma_f32_16x16x32_fp8_fp8 v[192:195], a[114:115], v[142:143], v[192:195]// 000000005DBC: D3F300C0 0F031D72
	buffer_load_dwordx4 a[48:51], v36, s[12:15], 0 offen       // 000000005DC4: E05C1000 80833024
	v_mfma_f32_16x16x32_fp8_fp8 v[196:199], a[112:113], v[156:157], v[196:199]// 000000005DCC: D3F300C4 0F133970
	v_mfma_f32_16x16x32_fp8_fp8 v[196:199], a[114:115], v[158:159], v[196:199]// 000000005DD4: D3F300C4 0F133D72
	buffer_load_dword v11, v5, s[16:19], 0 offen               // 000000005DDC: E0501000 80040B05
	v_mfma_f32_16x16x32_fp8_fp8 v[200:203], a[116:117], v[140:141], v[200:203]// 000000005DE4: D3F300C8 0F231974
	v_mfma_f32_16x16x32_fp8_fp8 v[200:203], a[118:119], v[142:143], v[200:203]// 000000005DEC: D3F300C8 0F231D76
	buffer_load_dwordx4 a[52:55], v37, s[12:15], 0 offen       // 000000005DF4: E05C1000 80833425
	v_mfma_f32_16x16x32_fp8_fp8 v[204:207], a[116:117], v[156:157], v[204:207]// 000000005DFC: D3F300CC 0F333974
	v_mfma_f32_16x16x32_fp8_fp8 v[204:207], a[118:119], v[158:159], v[204:207]// 000000005E04: D3F300CC 0F333D76
	v_mfma_f32_16x16x32_fp8_fp8 v[208:211], a[120:121], v[140:141], v[208:211]// 000000005E0C: D3F300D0 0F431978
	v_mfma_f32_16x16x32_fp8_fp8 v[208:211], a[122:123], v[142:143], v[208:211]// 000000005E14: D3F300D0 0F431D7A
	buffer_load_dwordx4 a[56:59], v38, s[12:15], 0 offen       // 000000005E1C: E05C1000 80833826
	v_mfma_f32_16x16x32_fp8_fp8 v[212:215], a[120:121], v[156:157], v[212:215]// 000000005E24: D3F300D4 0F533978
	v_mfma_f32_16x16x32_fp8_fp8 v[212:215], a[122:123], v[158:159], v[212:215]// 000000005E2C: D3F300D4 0F533D7A
	v_mfma_f32_16x16x32_fp8_fp8 v[216:219], a[124:125], v[140:141], v[216:219]// 000000005E34: D3F300D8 0F63197C
	v_mfma_f32_16x16x32_fp8_fp8 v[216:219], a[126:127], v[142:143], v[216:219]// 000000005E3C: D3F300D8 0F631D7E
	buffer_load_dwordx4 a[60:63], v39, s[12:15], 0 offen       // 000000005E44: E05C1000 80833C27
	v_mfma_f32_16x16x32_fp8_fp8 v[220:223], a[124:125], v[156:157], v[220:223]// 000000005E4C: D3F300DC 0F73397C
	v_mfma_f32_16x16x32_fp8_fp8 v[220:223], a[126:127], v[158:159], v[220:223]// 000000005E54: D3F300DC 0F733D7E
	s_add_u32 s60, 0x200, s80                                  // 000000005E5C: 803C50FF 00000200
	s_cmp_lt_u32 s60, s81                                      // 000000005E64: BF0A513C
	s_cselect_b32 s56, s56, 0                                  // 000000005E68: 85388038
	s_cselect_b32 s78, s78, 0                                  // 000000005E6C: 854E804E
	s_cselect_b32 s79, s79, 0                                  // 000000005E70: 854F804F
	s_add_u32 s12, s56, s12                                    // 000000005E74: 800C0C38
	s_addc_u32 s13, 0, s13                                     // 000000005E78: 820D0D80
	s_add_u32 s16, s79, s16                                    // 000000005E7C: 8010104F
	s_addc_u32 s17, 0, s17                                     // 000000005E80: 82111180
	v_mul_f32_e32 v192, v22, v192                              // 000000005E84: 0B818116
	v_mul_f32_e32 v193, v22, v193                              // 000000005E88: 0B838316
	v_mul_f32_e32 v194, v22, v194                              // 000000005E8C: 0B858516
	v_mul_f32_e32 v195, v22, v195                              // 000000005E90: 0B878716
	v_mul_f32_dpp v192, v12, v192 row_newbcast:0 row_mask:0xf bank_mask:0xf// 000000005E94: 0B8180FA FF01500C
	v_mul_f32_dpp v193, v12, v193 row_newbcast:1 row_mask:0xf bank_mask:0xf// 000000005E9C: 0B8382FA FF01510C
	v_mul_f32_dpp v194, v12, v194 row_newbcast:2 row_mask:0xf bank_mask:0xf// 000000005EA4: 0B8584FA FF01520C
	v_mul_f32_dpp v195, v12, v195 row_newbcast:3 row_mask:0xf bank_mask:0xf// 000000005EAC: 0B8786FA FF01530C
	v_mul_f32_e32 v192, v17, v192                              // 000000005EB4: 0B818111
	v_mul_f32_e32 v193, v17, v193                              // 000000005EB8: 0B838311
	v_mul_f32_e32 v194, v17, v194                              // 000000005EBC: 0B858511
	v_mul_f32_e32 v195, v17, v195                              // 000000005EC0: 0B878711
	v_mul_f32_e32 v196, v23, v196                              // 000000005EC4: 0B898917
	v_mul_f32_e32 v197, v23, v197                              // 000000005EC8: 0B8B8B17
	v_mul_f32_e32 v198, v23, v198                              // 000000005ECC: 0B8D8D17
	v_mul_f32_e32 v199, v23, v199                              // 000000005ED0: 0B8F8F17
	v_mul_f32_dpp v196, v12, v196 row_newbcast:0 row_mask:0xf bank_mask:0xf// 000000005ED4: 0B8988FA FF01500C
	v_mul_f32_dpp v197, v12, v197 row_newbcast:1 row_mask:0xf bank_mask:0xf// 000000005EDC: 0B8B8AFA FF01510C
	v_mul_f32_dpp v198, v12, v198 row_newbcast:2 row_mask:0xf bank_mask:0xf// 000000005EE4: 0B8D8CFA FF01520C
	v_mul_f32_dpp v199, v12, v199 row_newbcast:3 row_mask:0xf bank_mask:0xf// 000000005EEC: 0B8F8EFA FF01530C
	v_mul_f32_e32 v196, v18, v196                              // 000000005EF4: 0B898912
	v_mul_f32_e32 v197, v18, v197                              // 000000005EF8: 0B8B8B12
	v_mul_f32_e32 v198, v18, v198                              // 000000005EFC: 0B8D8D12
	v_mul_f32_e32 v199, v18, v199                              // 000000005F00: 0B8F8F12
	v_mul_f32_e32 v200, v22, v200                              // 000000005F04: 0B919116
	v_mul_f32_e32 v201, v22, v201                              // 000000005F08: 0B939316
	v_mul_f32_e32 v202, v22, v202                              // 000000005F0C: 0B959516
	v_mul_f32_e32 v203, v22, v203                              // 000000005F10: 0B979716
	v_mul_f32_dpp v200, v12, v200 row_newbcast:4 row_mask:0xf bank_mask:0xf// 000000005F14: 0B9190FA FF01540C
	v_mul_f32_dpp v201, v12, v201 row_newbcast:5 row_mask:0xf bank_mask:0xf// 000000005F1C: 0B9392FA FF01550C
	v_mul_f32_dpp v202, v12, v202 row_newbcast:6 row_mask:0xf bank_mask:0xf// 000000005F24: 0B9594FA FF01560C
	v_mul_f32_dpp v203, v12, v203 row_newbcast:7 row_mask:0xf bank_mask:0xf// 000000005F2C: 0B9796FA FF01570C
	v_mul_f32_e32 v200, v17, v200                              // 000000005F34: 0B919111
	v_mul_f32_e32 v201, v17, v201                              // 000000005F38: 0B939311
	v_mul_f32_e32 v202, v17, v202                              // 000000005F3C: 0B959511
	v_mul_f32_e32 v203, v17, v203                              // 000000005F40: 0B979711
	v_mul_f32_e32 v204, v23, v204                              // 000000005F44: 0B999917
	v_mul_f32_e32 v205, v23, v205                              // 000000005F48: 0B9B9B17
	v_mul_f32_e32 v206, v23, v206                              // 000000005F4C: 0B9D9D17
	v_mul_f32_e32 v207, v23, v207                              // 000000005F50: 0B9F9F17
	v_mul_f32_dpp v204, v12, v204 row_newbcast:4 row_mask:0xf bank_mask:0xf// 000000005F54: 0B9998FA FF01540C
	v_mul_f32_dpp v205, v12, v205 row_newbcast:5 row_mask:0xf bank_mask:0xf// 000000005F5C: 0B9B9AFA FF01550C
	v_mul_f32_dpp v206, v12, v206 row_newbcast:6 row_mask:0xf bank_mask:0xf// 000000005F64: 0B9D9CFA FF01560C
	v_mul_f32_dpp v207, v12, v207 row_newbcast:7 row_mask:0xf bank_mask:0xf// 000000005F6C: 0B9F9EFA FF01570C
	v_mul_f32_e32 v204, v18, v204                              // 000000005F74: 0B999912
	v_mul_f32_e32 v205, v18, v205                              // 000000005F78: 0B9B9B12
	v_mul_f32_e32 v206, v18, v206                              // 000000005F7C: 0B9D9D12
	v_mul_f32_e32 v207, v18, v207                              // 000000005F80: 0B9F9F12
	v_mul_f32_e32 v208, v22, v208                              // 000000005F84: 0BA1A116
	v_mul_f32_e32 v209, v22, v209                              // 000000005F88: 0BA3A316
	v_mul_f32_e32 v210, v22, v210                              // 000000005F8C: 0BA5A516
	v_mul_f32_e32 v211, v22, v211                              // 000000005F90: 0BA7A716
	v_mul_f32_dpp v208, v12, v208 row_newbcast:8 row_mask:0xf bank_mask:0xf// 000000005F94: 0BA1A0FA FF01580C
	v_mul_f32_dpp v209, v12, v209 row_newbcast:9 row_mask:0xf bank_mask:0xf// 000000005F9C: 0BA3A2FA FF01590C
	v_mul_f32_dpp v210, v12, v210 row_newbcast:10 row_mask:0xf bank_mask:0xf// 000000005FA4: 0BA5A4FA FF015A0C
	v_mul_f32_dpp v211, v12, v211 row_newbcast:11 row_mask:0xf bank_mask:0xf// 000000005FAC: 0BA7A6FA FF015B0C
	v_mul_f32_e32 v208, v17, v208                              // 000000005FB4: 0BA1A111
	v_mul_f32_e32 v209, v17, v209                              // 000000005FB8: 0BA3A311
	v_mul_f32_e32 v210, v17, v210                              // 000000005FBC: 0BA5A511
	v_mul_f32_e32 v211, v17, v211                              // 000000005FC0: 0BA7A711
	v_mul_f32_e32 v212, v23, v212                              // 000000005FC4: 0BA9A917
	v_mul_f32_e32 v213, v23, v213                              // 000000005FC8: 0BABAB17
	v_mul_f32_e32 v214, v23, v214                              // 000000005FCC: 0BADAD17
	v_mul_f32_e32 v215, v23, v215                              // 000000005FD0: 0BAFAF17
	v_mul_f32_dpp v212, v12, v212 row_newbcast:8 row_mask:0xf bank_mask:0xf// 000000005FD4: 0BA9A8FA FF01580C
	v_mul_f32_dpp v213, v12, v213 row_newbcast:9 row_mask:0xf bank_mask:0xf// 000000005FDC: 0BABAAFA FF01590C
	v_mul_f32_dpp v214, v12, v214 row_newbcast:10 row_mask:0xf bank_mask:0xf// 000000005FE4: 0BADACFA FF015A0C
	v_mul_f32_dpp v215, v12, v215 row_newbcast:11 row_mask:0xf bank_mask:0xf// 000000005FEC: 0BAFAEFA FF015B0C
	v_mul_f32_e32 v212, v18, v212                              // 000000005FF4: 0BA9A912
	v_mul_f32_e32 v213, v18, v213                              // 000000005FF8: 0BABAB12
	v_mul_f32_e32 v214, v18, v214                              // 000000005FFC: 0BADAD12
	v_mul_f32_e32 v215, v18, v215                              // 000000006000: 0BAFAF12
	v_mul_f32_e32 v216, v22, v216                              // 000000006004: 0BB1B116
	v_mul_f32_e32 v217, v22, v217                              // 000000006008: 0BB3B316
	v_mul_f32_e32 v218, v22, v218                              // 00000000600C: 0BB5B516
	v_mul_f32_e32 v219, v22, v219                              // 000000006010: 0BB7B716
	v_mul_f32_dpp v216, v12, v216 row_newbcast:12 row_mask:0xf bank_mask:0xf// 000000006014: 0BB1B0FA FF015C0C
	v_mul_f32_dpp v217, v12, v217 row_newbcast:13 row_mask:0xf bank_mask:0xf// 00000000601C: 0BB3B2FA FF015D0C
	v_mul_f32_dpp v218, v12, v218 row_newbcast:14 row_mask:0xf bank_mask:0xf// 000000006024: 0BB5B4FA FF015E0C
	v_mul_f32_dpp v219, v12, v219 row_newbcast:15 row_mask:0xf bank_mask:0xf// 00000000602C: 0BB7B6FA FF015F0C
	v_mul_f32_e32 v216, v17, v216                              // 000000006034: 0BB1B111
	v_mul_f32_e32 v217, v17, v217                              // 000000006038: 0BB3B311
	v_mul_f32_e32 v218, v17, v218                              // 00000000603C: 0BB5B511
	v_mul_f32_e32 v219, v17, v219                              // 000000006040: 0BB7B711
	v_mul_f32_e32 v220, v23, v220                              // 000000006044: 0BB9B917
	v_mul_f32_e32 v221, v23, v221                              // 000000006048: 0BBBBB17
	v_mul_f32_e32 v222, v23, v222                              // 00000000604C: 0BBDBD17
	v_mul_f32_e32 v223, v23, v223                              // 000000006050: 0BBFBF17
	v_mul_f32_dpp v220, v12, v220 row_newbcast:12 row_mask:0xf bank_mask:0xf// 000000006054: 0BB9B8FA FF015C0C
	v_mul_f32_dpp v221, v12, v221 row_newbcast:13 row_mask:0xf bank_mask:0xf// 00000000605C: 0BBBBAFA FF015D0C
	v_mul_f32_dpp v222, v12, v222 row_newbcast:14 row_mask:0xf bank_mask:0xf// 000000006064: 0BBDBCFA FF015E0C
	v_mul_f32_dpp v223, v12, v223 row_newbcast:15 row_mask:0xf bank_mask:0xf// 00000000606C: 0BBFBEFA FF015F0C
	v_mul_f32_e32 v220, v18, v220                              // 000000006074: 0BB9B912
	v_mul_f32_e32 v221, v18, v221                              // 000000006078: 0BBBBB12
	v_mul_f32_e32 v222, v18, v222                              // 00000000607C: 0BBDBD12
	v_mul_f32_e32 v223, v18, v223                              // 000000006080: 0BBFBF12
	v_cmp_u_f32_e64 s[48:49], v192, v192                       // 000000006084: D0480030 000381C0
	v_add3_u32 v40, v192, v43, 1                               // 00000000608C: D1FF0028 020657C0
	v_cndmask_b32_e64 v46, v40, v42, s[48:49]                  // 000000006094: D100002E 00C25528
	v_cmp_u_f32_e64 s[48:49], v193, v193                       // 00000000609C: D0480030 000383C1
	v_add3_u32 v40, v193, v43, 1                               // 0000000060A4: D1FF0028 020657C1
	v_cndmask_b32_e64 v47, v40, v42, s[48:49]                  // 0000000060AC: D100002F 00C25528
	v_perm_b32 v192, v47, v46, s52                             // 0000000060B4: D1ED00C0 00D25D2F
	v_cmp_u_f32_e64 s[48:49], v194, v194                       // 0000000060BC: D0480030 000385C2
	v_add3_u32 v40, v194, v43, 1                               // 0000000060C4: D1FF0028 020657C2
	v_cndmask_b32_e64 v46, v40, v42, s[48:49]                  // 0000000060CC: D100002E 00C25528
	v_cmp_u_f32_e64 s[48:49], v195, v195                       // 0000000060D4: D0480030 000387C3
	v_add3_u32 v40, v195, v43, 1                               // 0000000060DC: D1FF0028 020657C3
	v_cndmask_b32_e64 v47, v40, v42, s[48:49]                  // 0000000060E4: D100002F 00C25528
	v_perm_b32 v193, v47, v46, s52                             // 0000000060EC: D1ED00C1 00D25D2F
	v_cmp_u_f32_e64 s[48:49], v196, v196                       // 0000000060F4: D0480030 000389C4
	v_add3_u32 v40, v196, v43, 1                               // 0000000060FC: D1FF0028 020657C4
	v_cndmask_b32_e64 v46, v40, v42, s[48:49]                  // 000000006104: D100002E 00C25528
	v_cmp_u_f32_e64 s[48:49], v197, v197                       // 00000000610C: D0480030 00038BC5
	v_add3_u32 v40, v197, v43, 1                               // 000000006114: D1FF0028 020657C5
	v_cndmask_b32_e64 v47, v40, v42, s[48:49]                  // 00000000611C: D100002F 00C25528
	v_perm_b32 v194, v47, v46, s52                             // 000000006124: D1ED00C2 00D25D2F
	v_cmp_u_f32_e64 s[48:49], v198, v198                       // 00000000612C: D0480030 00038DC6
	v_add3_u32 v40, v198, v43, 1                               // 000000006134: D1FF0028 020657C6
	v_cndmask_b32_e64 v46, v40, v42, s[48:49]                  // 00000000613C: D100002E 00C25528
	v_cmp_u_f32_e64 s[48:49], v199, v199                       // 000000006144: D0480030 00038FC7
	v_add3_u32 v40, v199, v43, 1                               // 00000000614C: D1FF0028 020657C7
	v_cndmask_b32_e64 v47, v40, v42, s[48:49]                  // 000000006154: D100002F 00C25528
	v_perm_b32 v195, v47, v46, s52                             // 00000000615C: D1ED00C3 00D25D2F
	v_cmp_u_f32_e64 s[48:49], v200, v200                       // 000000006164: D0480030 000391C8
	v_add3_u32 v40, v200, v43, 1                               // 00000000616C: D1FF0028 020657C8
	v_cndmask_b32_e64 v46, v40, v42, s[48:49]                  // 000000006174: D100002E 00C25528
	v_cmp_u_f32_e64 s[48:49], v201, v201                       // 00000000617C: D0480030 000393C9
	v_add3_u32 v40, v201, v43, 1                               // 000000006184: D1FF0028 020657C9
	v_cndmask_b32_e64 v47, v40, v42, s[48:49]                  // 00000000618C: D100002F 00C25528
	v_perm_b32 v196, v47, v46, s52                             // 000000006194: D1ED00C4 00D25D2F
	v_cmp_u_f32_e64 s[48:49], v202, v202                       // 00000000619C: D0480030 000395CA
	v_add3_u32 v40, v202, v43, 1                               // 0000000061A4: D1FF0028 020657CA
	v_cndmask_b32_e64 v46, v40, v42, s[48:49]                  // 0000000061AC: D100002E 00C25528
	v_cmp_u_f32_e64 s[48:49], v203, v203                       // 0000000061B4: D0480030 000397CB
	v_add3_u32 v40, v203, v43, 1                               // 0000000061BC: D1FF0028 020657CB
	v_cndmask_b32_e64 v47, v40, v42, s[48:49]                  // 0000000061C4: D100002F 00C25528
	v_perm_b32 v197, v47, v46, s52                             // 0000000061CC: D1ED00C5 00D25D2F
	v_cmp_u_f32_e64 s[48:49], v204, v204                       // 0000000061D4: D0480030 000399CC
	v_add3_u32 v40, v204, v43, 1                               // 0000000061DC: D1FF0028 020657CC
	v_cndmask_b32_e64 v46, v40, v42, s[48:49]                  // 0000000061E4: D100002E 00C25528
	v_cmp_u_f32_e64 s[48:49], v205, v205                       // 0000000061EC: D0480030 00039BCD
	v_add3_u32 v40, v205, v43, 1                               // 0000000061F4: D1FF0028 020657CD
	v_cndmask_b32_e64 v47, v40, v42, s[48:49]                  // 0000000061FC: D100002F 00C25528
	v_perm_b32 v198, v47, v46, s52                             // 000000006204: D1ED00C6 00D25D2F
	v_cmp_u_f32_e64 s[48:49], v206, v206                       // 00000000620C: D0480030 00039DCE
	v_add3_u32 v40, v206, v43, 1                               // 000000006214: D1FF0028 020657CE
	v_cndmask_b32_e64 v46, v40, v42, s[48:49]                  // 00000000621C: D100002E 00C25528
	v_cmp_u_f32_e64 s[48:49], v207, v207                       // 000000006224: D0480030 00039FCF
	v_add3_u32 v40, v207, v43, 1                               // 00000000622C: D1FF0028 020657CF
	v_cndmask_b32_e64 v47, v40, v42, s[48:49]                  // 000000006234: D100002F 00C25528
	v_perm_b32 v199, v47, v46, s52                             // 00000000623C: D1ED00C7 00D25D2F
	v_cmp_u_f32_e64 s[48:49], v208, v208                       // 000000006244: D0480030 0003A1D0
	v_add3_u32 v40, v208, v43, 1                               // 00000000624C: D1FF0028 020657D0
	v_cndmask_b32_e64 v46, v40, v42, s[48:49]                  // 000000006254: D100002E 00C25528
	v_cmp_u_f32_e64 s[48:49], v209, v209                       // 00000000625C: D0480030 0003A3D1
	v_add3_u32 v40, v209, v43, 1                               // 000000006264: D1FF0028 020657D1
	v_cndmask_b32_e64 v47, v40, v42, s[48:49]                  // 00000000626C: D100002F 00C25528
	v_perm_b32 v200, v47, v46, s52                             // 000000006274: D1ED00C8 00D25D2F
	v_cmp_u_f32_e64 s[48:49], v210, v210                       // 00000000627C: D0480030 0003A5D2
	v_add3_u32 v40, v210, v43, 1                               // 000000006284: D1FF0028 020657D2
	v_cndmask_b32_e64 v46, v40, v42, s[48:49]                  // 00000000628C: D100002E 00C25528
	v_cmp_u_f32_e64 s[48:49], v211, v211                       // 000000006294: D0480030 0003A7D3
	v_add3_u32 v40, v211, v43, 1                               // 00000000629C: D1FF0028 020657D3
	v_cndmask_b32_e64 v47, v40, v42, s[48:49]                  // 0000000062A4: D100002F 00C25528
	v_perm_b32 v201, v47, v46, s52                             // 0000000062AC: D1ED00C9 00D25D2F
	v_cmp_u_f32_e64 s[48:49], v212, v212                       // 0000000062B4: D0480030 0003A9D4
	v_add3_u32 v40, v212, v43, 1                               // 0000000062BC: D1FF0028 020657D4
	v_cndmask_b32_e64 v46, v40, v42, s[48:49]                  // 0000000062C4: D100002E 00C25528
	v_cmp_u_f32_e64 s[48:49], v213, v213                       // 0000000062CC: D0480030 0003ABD5
	v_add3_u32 v40, v213, v43, 1                               // 0000000062D4: D1FF0028 020657D5
	v_cndmask_b32_e64 v47, v40, v42, s[48:49]                  // 0000000062DC: D100002F 00C25528
	v_perm_b32 v202, v47, v46, s52                             // 0000000062E4: D1ED00CA 00D25D2F
	v_cmp_u_f32_e64 s[48:49], v214, v214                       // 0000000062EC: D0480030 0003ADD6
	v_add3_u32 v40, v214, v43, 1                               // 0000000062F4: D1FF0028 020657D6
	v_cndmask_b32_e64 v46, v40, v42, s[48:49]                  // 0000000062FC: D100002E 00C25528
	v_cmp_u_f32_e64 s[48:49], v215, v215                       // 000000006304: D0480030 0003AFD7
	v_add3_u32 v40, v215, v43, 1                               // 00000000630C: D1FF0028 020657D7
	v_cndmask_b32_e64 v47, v40, v42, s[48:49]                  // 000000006314: D100002F 00C25528
	v_perm_b32 v203, v47, v46, s52                             // 00000000631C: D1ED00CB 00D25D2F
	v_cmp_u_f32_e64 s[48:49], v216, v216                       // 000000006324: D0480030 0003B1D8
	v_add3_u32 v40, v216, v43, 1                               // 00000000632C: D1FF0028 020657D8
	v_cndmask_b32_e64 v46, v40, v42, s[48:49]                  // 000000006334: D100002E 00C25528
	v_cmp_u_f32_e64 s[48:49], v217, v217                       // 00000000633C: D0480030 0003B3D9
	v_add3_u32 v40, v217, v43, 1                               // 000000006344: D1FF0028 020657D9
	v_cndmask_b32_e64 v47, v40, v42, s[48:49]                  // 00000000634C: D100002F 00C25528
	v_perm_b32 v204, v47, v46, s52                             // 000000006354: D1ED00CC 00D25D2F
	v_cmp_u_f32_e64 s[48:49], v218, v218                       // 00000000635C: D0480030 0003B5DA
	v_add3_u32 v40, v218, v43, 1                               // 000000006364: D1FF0028 020657DA
	v_cndmask_b32_e64 v46, v40, v42, s[48:49]                  // 00000000636C: D100002E 00C25528
	v_cmp_u_f32_e64 s[48:49], v219, v219                       // 000000006374: D0480030 0003B7DB
	v_add3_u32 v40, v219, v43, 1                               // 00000000637C: D1FF0028 020657DB
	v_cndmask_b32_e64 v47, v40, v42, s[48:49]                  // 000000006384: D100002F 00C25528
	v_perm_b32 v205, v47, v46, s52                             // 00000000638C: D1ED00CD 00D25D2F
	v_cmp_u_f32_e64 s[48:49], v220, v220                       // 000000006394: D0480030 0003B9DC
	v_add3_u32 v40, v220, v43, 1                               // 00000000639C: D1FF0028 020657DC
	v_cndmask_b32_e64 v46, v40, v42, s[48:49]                  // 0000000063A4: D100002E 00C25528
	v_cmp_u_f32_e64 s[48:49], v221, v221                       // 0000000063AC: D0480030 0003BBDD
	v_add3_u32 v40, v221, v43, 1                               // 0000000063B4: D1FF0028 020657DD
	v_cndmask_b32_e64 v47, v40, v42, s[48:49]                  // 0000000063BC: D100002F 00C25528
	v_perm_b32 v206, v47, v46, s52                             // 0000000063C4: D1ED00CE 00D25D2F
	v_cmp_u_f32_e64 s[48:49], v222, v222                       // 0000000063CC: D0480030 0003BDDE
	v_add3_u32 v40, v222, v43, 1                               // 0000000063D4: D1FF0028 020657DE
	v_cndmask_b32_e64 v46, v40, v42, s[48:49]                  // 0000000063DC: D100002E 00C25528
	v_cmp_u_f32_e64 s[48:49], v223, v223                       // 0000000063E4: D0480030 0003BFDF
	v_add3_u32 v40, v223, v43, 1                               // 0000000063EC: D1FF0028 020657DF
	v_cndmask_b32_e64 v47, v40, v42, s[48:49]                  // 0000000063F4: D100002F 00C25528
	v_perm_b32 v207, v47, v46, s52                             // 0000000063FC: D1ED00CF 00D25D2F
	s_cmp_ge_u32 s80, 0x200                                    // 000000006404: BF09FF50 00000200
	s_cselect_b32 s59, 0x200, s59                              // 00000000640C: 853B3BFF 00000200
	s_setvskip s20, 0                                          // 000000006414: BF108014
	global_atomic_pk_add_bf16 v80, v64, s[8:9]                 // 000000006418: DD488000 00084050
	s_setvskip 0, 0                                            // 000000006420: BF108080
	s_setvskip s20, 0                                          // 000000006424: BF108014
	global_atomic_pk_add_bf16 v80, v65, s[8:9] offset:256      // 000000006428: DD488100 00084150
	s_setvskip 0, 0                                            // 000000006430: BF108080
	s_setvskip s20, 1                                          // 000000006434: BF108114
	global_atomic_pk_add_bf16 v82, v66, s[8:9]                 // 000000006438: DD488000 00084252
	s_setvskip 0, 0                                            // 000000006440: BF108080
	s_setvskip s20, 1                                          // 000000006444: BF108114
	global_atomic_pk_add_bf16 v82, v67, s[8:9] offset:256      // 000000006448: DD488100 00084352
	s_setvskip 0, 0                                            // 000000006450: BF108080
	s_setvskip s20, 2                                          // 000000006454: BF108214
	global_atomic_pk_add_bf16 v84, v68, s[8:9]                 // 000000006458: DD488000 00084454
	s_setvskip 0, 0                                            // 000000006460: BF108080
	s_setvskip s20, 2                                          // 000000006464: BF108214
	global_atomic_pk_add_bf16 v84, v69, s[8:9] offset:256      // 000000006468: DD488100 00084554
	s_setvskip 0, 0                                            // 000000006470: BF108080
	s_setvskip s20, 3                                          // 000000006474: BF108314
	global_atomic_pk_add_bf16 v86, v70, s[8:9]                 // 000000006478: DD488000 00084656
	s_setvskip 0, 0                                            // 000000006480: BF108080
	s_setvskip s20, 3                                          // 000000006484: BF108314
	global_atomic_pk_add_bf16 v86, v71, s[8:9] offset:256      // 000000006488: DD488100 00084756
	s_setvskip 0, 0                                            // 000000006490: BF108080
	s_setvskip s20, 4                                          // 000000006494: BF108414
	global_atomic_pk_add_bf16 v88, v72, s[8:9]                 // 000000006498: DD488000 00084858
	s_setvskip 0, 0                                            // 0000000064A0: BF108080
	s_setvskip s20, 4                                          // 0000000064A4: BF108414
	global_atomic_pk_add_bf16 v88, v73, s[8:9] offset:256      // 0000000064A8: DD488100 00084958
	s_setvskip 0, 0                                            // 0000000064B0: BF108080
	s_setvskip s20, 5                                          // 0000000064B4: BF108514
	global_atomic_pk_add_bf16 v90, v74, s[8:9]                 // 0000000064B8: DD488000 00084A5A
	s_setvskip 0, 0                                            // 0000000064C0: BF108080
	s_setvskip s20, 5                                          // 0000000064C4: BF108514
	global_atomic_pk_add_bf16 v90, v75, s[8:9] offset:256      // 0000000064C8: DD488100 00084B5A
	s_setvskip 0, 0                                            // 0000000064D0: BF108080
	s_setvskip s20, 6                                          // 0000000064D4: BF108614
	global_atomic_pk_add_bf16 v92, v76, s[8:9]                 // 0000000064D8: DD488000 00084C5C
	s_setvskip 0, 0                                            // 0000000064E0: BF108080
	s_setvskip s20, 6                                          // 0000000064E4: BF108614
	global_atomic_pk_add_bf16 v92, v77, s[8:9] offset:256      // 0000000064E8: DD488100 00084D5C
	s_setvskip 0, 0                                            // 0000000064F0: BF108080
	s_setvskip s20, 7                                          // 0000000064F4: BF108714
	global_atomic_pk_add_bf16 v94, v78, s[8:9]                 // 0000000064F8: DD488000 00084E5E
	s_setvskip 0, 0                                            // 000000006500: BF108080
	s_setvskip s20, 7                                          // 000000006504: BF108714
	global_atomic_pk_add_bf16 v94, v79, s[8:9] offset:256      // 000000006508: DD488100 00084F5E
	s_setvskip 0, 0                                            // 000000006510: BF108080
	s_add_u32 s8, s59, s8                                      // 000000006514: 8008083B
	s_addc_u32 s9, 0, s9                                       // 000000006518: 82090980
	s_addk_i32 s80, 0x100                                      // 00000000651C: B7500100
	s_cmp_lt_i32 s80, s81                                      // 000000006520: BF045150
	s_cbranch_scc0 label_0DCB                                  // 000000006524: BF840001
	s_branch label_08AA                                        // 000000006528: BF82FADF

000000000000652c <label_0DCB>:
	s_nop 0                                                    // 00000000652C: BF800000
	s_nop 0                                                    // 000000006530: BF800000
	s_branch label_195A                                        // 000000006534: BF820B8C

0000000000006538 <label_0DCE>:
	s_waitcnt vmcnt(8) lgkmcnt(0)                              // 000000006538: BF8C0078
	s_barrier                                                  // 00000000653C: BF8A0000
	v_mfma_f32_16x16x32_fp8_fp8 v[128:131], a[0:1], v[160:161], v[128:131]// 000000006540: D3F30080 0E034100
	buffer_load_dwordx4 a[64:67], v32, s[92:95], 0 offen       // 000000006548: E05C1000 80974020
	v_mfma_f32_16x16x32_fp8_fp8 v[128:131], a[2:3], v[162:163], v[128:131]// 000000006550: D3F30080 0E034502
	v_mfma_f32_16x16x32_fp8_fp8 v[128:131], a[4:5], v[164:165], v[128:131]// 000000006558: D3F30080 0E034904
	buffer_load_dword v24, s[20:23], 0 offen lds               // 000000006560: E0511000 80050018
	s_add_u32 m0, 0x100, s51                                   // 000000006568: 807C33FF 00000100
	v_mfma_f32_16x16x32_fp8_fp8 v[128:131], a[6:7], v[166:167], v[128:131]// 000000006570: D3F30080 0E034D06
	v_mfma_f32_16x16x32_fp8_fp8 v[128:131], a[8:9], v[168:169], v[128:131]// 000000006578: D3F30080 0E035108
	buffer_load_dwordx4 a[68:71], v32, s[92:95], 0 offen offset:1024// 000000006580: E05C1400 80974420
	v_mfma_f32_16x16x32_fp8_fp8 v[128:131], a[10:11], v[170:171], v[128:131]// 000000006588: D3F30080 0E03550A
	v_mfma_f32_16x16x32_fp8_fp8 v[128:131], a[12:13], v[172:173], v[128:131]// 000000006590: D3F30080 0E03590C
	buffer_load_dword v25, s[20:23], 0 offen lds               // 000000006598: E0511000 80050019
	s_add_u32 m0, 0x200, s51                                   // 0000000065A0: 807C33FF 00000200
	v_mfma_f32_16x16x32_fp8_fp8 v[128:131], a[14:15], v[174:175], v[128:131]// 0000000065A8: D3F30080 0E035D0E
	v_mfma_f32_16x16x32_fp8_fp8 v[132:135], a[0:1], v[176:177], v[132:135]// 0000000065B0: D3F30084 0E136100
	buffer_load_dwordx4 a[72:75], v32, s[92:95], 0 offen offset:2048// 0000000065B8: E05C1800 80974820
	v_mfma_f32_16x16x32_fp8_fp8 v[132:135], a[2:3], v[178:179], v[132:135]// 0000000065C0: D3F30084 0E136502
	v_mfma_f32_16x16x32_fp8_fp8 v[132:135], a[4:5], v[180:181], v[132:135]// 0000000065C8: D3F30084 0E136904
	buffer_load_dword v26, s[20:23], 0 offen lds               // 0000000065D0: E0511000 8005001A
	s_add_u32 m0, 0x300, s51                                   // 0000000065D8: 807C33FF 00000300
	v_mfma_f32_16x16x32_fp8_fp8 v[132:135], a[6:7], v[182:183], v[132:135]// 0000000065E0: D3F30084 0E136D06
	v_mfma_f32_16x16x32_fp8_fp8 v[132:135], a[8:9], v[184:185], v[132:135]// 0000000065E8: D3F30084 0E137108
	buffer_load_dwordx4 a[76:79], v32, s[92:95], 0 offen offset:3072// 0000000065F0: E05C1C00 80974C20
	v_mfma_f32_16x16x32_fp8_fp8 v[132:135], a[10:11], v[186:187], v[132:135]// 0000000065F8: D3F30084 0E13750A
	v_mfma_f32_16x16x32_fp8_fp8 v[132:135], a[12:13], v[188:189], v[132:135]// 000000006600: D3F30084 0E13790C
	buffer_load_dword v27, s[20:23], 0 offen lds               // 000000006608: E0511000 8005001B
	s_add_u32 m0, 0x400, s51                                   // 000000006610: 807C33FF 00000400
	v_mfma_f32_16x16x32_fp8_fp8 v[132:135], a[14:15], v[190:191], v[132:135]// 000000006618: D3F30084 0E137D0E
	v_mfma_f32_16x16x32_fp8_fp8 v[136:139], a[16:17], v[160:161], v[136:139]// 000000006620: D3F30088 0E234110
	buffer_load_dwordx4 a[80:83], v33, s[92:95], 0 offen       // 000000006628: E05C1000 80975021
	v_mfma_f32_16x16x32_fp8_fp8 v[136:139], a[18:19], v[162:163], v[136:139]// 000000006630: D3F30088 0E234512
	v_mfma_f32_16x16x32_fp8_fp8 v[136:139], a[20:21], v[164:165], v[136:139]// 000000006638: D3F30088 0E234914
	buffer_load_dword v28, s[20:23], 0 offen lds               // 000000006640: E0511000 8005001C
	s_add_u32 m0, 0x500, s51                                   // 000000006648: 807C33FF 00000500
	v_mfma_f32_16x16x32_fp8_fp8 v[136:139], a[22:23], v[166:167], v[136:139]// 000000006650: D3F30088 0E234D16
	v_mfma_f32_16x16x32_fp8_fp8 v[136:139], a[24:25], v[168:169], v[136:139]// 000000006658: D3F30088 0E235118
	buffer_load_dwordx4 a[84:87], v33, s[92:95], 0 offen offset:1024// 000000006660: E05C1400 80975421
	v_mfma_f32_16x16x32_fp8_fp8 v[136:139], a[26:27], v[170:171], v[136:139]// 000000006668: D3F30088 0E23551A
	v_mfma_f32_16x16x32_fp8_fp8 v[136:139], a[28:29], v[172:173], v[136:139]// 000000006670: D3F30088 0E23591C
	buffer_load_dword v29, s[20:23], 0 offen lds               // 000000006678: E0511000 8005001D
	s_add_u32 m0, 0x600, s51                                   // 000000006680: 807C33FF 00000600
	v_mfma_f32_16x16x32_fp8_fp8 v[136:139], a[30:31], v[174:175], v[136:139]// 000000006688: D3F30088 0E235D1E
	v_mfma_f32_16x16x32_fp8_fp8 v[140:143], a[16:17], v[176:177], v[140:143]// 000000006690: D3F3008C 0E336110
	buffer_load_dwordx4 a[88:91], v33, s[92:95], 0 offen offset:2048// 000000006698: E05C1800 80975821
	v_mfma_f32_16x16x32_fp8_fp8 v[140:143], a[18:19], v[178:179], v[140:143]// 0000000066A0: D3F3008C 0E336512
	v_mfma_f32_16x16x32_fp8_fp8 v[140:143], a[20:21], v[180:181], v[140:143]// 0000000066A8: D3F3008C 0E336914
	buffer_load_dword v30, s[20:23], 0 offen lds               // 0000000066B0: E0511000 8005001E
	s_add_u32 m0, 0x700, s51                                   // 0000000066B8: 807C33FF 00000700
	v_mfma_f32_16x16x32_fp8_fp8 v[140:143], a[22:23], v[182:183], v[140:143]// 0000000066C0: D3F3008C 0E336D16
	v_mfma_f32_16x16x32_fp8_fp8 v[140:143], a[24:25], v[184:185], v[140:143]// 0000000066C8: D3F3008C 0E337118
	buffer_load_dwordx4 a[92:95], v33, s[92:95], 0 offen offset:3072// 0000000066D0: E05C1C00 80975C21
	v_mfma_f32_16x16x32_fp8_fp8 v[140:143], a[26:27], v[186:187], v[140:143]// 0000000066D8: D3F3008C 0E33751A
	v_mfma_f32_16x16x32_fp8_fp8 v[140:143], a[28:29], v[188:189], v[140:143]// 0000000066E0: D3F3008C 0E33791C
	buffer_load_dword v31, s[20:23], 0 offen lds               // 0000000066E8: E0511000 8005001F
	s_add_u32 m0, 0, s50                                       // 0000000066F0: 807C3280
	v_mfma_f32_16x16x32_fp8_fp8 v[140:143], a[30:31], v[190:191], v[140:143]// 0000000066F4: D3F3008C 0E337D1E
	s_waitcnt vmcnt(20)                                        // 0000000066FC: BF8C4F74
	v_mfma_f32_16x16x32_fp8_fp8 v[144:147], a[32:33], v[160:161], v[144:147]// 000000006700: D3F30090 0E434120
	buffer_load_dwordx4 a[96:99], v34, s[92:95], 0 offen       // 000000006708: E05C1000 80976022
	v_mfma_f32_16x16x32_fp8_fp8 v[144:147], a[34:35], v[162:163], v[144:147]// 000000006710: D3F30090 0E434522
	v_mfma_f32_16x16x32_fp8_fp8 v[144:147], a[36:37], v[164:165], v[144:147]// 000000006718: D3F30090 0E434924
	v_mfma_f32_16x16x32_fp8_fp8 v[144:147], a[38:39], v[166:167], v[144:147]// 000000006720: D3F30090 0E434D26
	v_mfma_f32_16x16x32_fp8_fp8 v[144:147], a[40:41], v[168:169], v[144:147]// 000000006728: D3F30090 0E435128
	buffer_load_dwordx4 a[100:103], v34, s[92:95], 0 offen offset:1024// 000000006730: E05C1400 80976422
	v_mfma_f32_16x16x32_fp8_fp8 v[144:147], a[42:43], v[170:171], v[144:147]// 000000006738: D3F30090 0E43552A
	v_mfma_f32_16x16x32_fp8_fp8 v[144:147], a[44:45], v[172:173], v[144:147]// 000000006740: D3F30090 0E43592C
	v_mfma_f32_16x16x32_fp8_fp8 v[144:147], a[46:47], v[174:175], v[144:147]// 000000006748: D3F30090 0E435D2E
	v_mfma_f32_16x16x32_fp8_fp8 v[148:151], a[32:33], v[176:177], v[148:151]// 000000006750: D3F30094 0E536120
	buffer_load_dwordx4 a[104:107], v34, s[92:95], 0 offen offset:2048// 000000006758: E05C1800 80976822
	v_mfma_f32_16x16x32_fp8_fp8 v[148:151], a[34:35], v[178:179], v[148:151]// 000000006760: D3F30094 0E536522
	v_mfma_f32_16x16x32_fp8_fp8 v[148:151], a[36:37], v[180:181], v[148:151]// 000000006768: D3F30094 0E536924
	v_mfma_f32_16x16x32_fp8_fp8 v[148:151], a[38:39], v[182:183], v[148:151]// 000000006770: D3F30094 0E536D26
	v_mfma_f32_16x16x32_fp8_fp8 v[148:151], a[40:41], v[184:185], v[148:151]// 000000006778: D3F30094 0E537128
	buffer_load_dwordx4 a[108:111], v34, s[92:95], 0 offen offset:3072// 000000006780: E05C1C00 80976C22
	v_mfma_f32_16x16x32_fp8_fp8 v[148:151], a[42:43], v[186:187], v[148:151]// 000000006788: D3F30094 0E53752A
	v_mfma_f32_16x16x32_fp8_fp8 v[148:151], a[44:45], v[188:189], v[148:151]// 000000006790: D3F30094 0E53792C
	v_mfma_f32_16x16x32_fp8_fp8 v[148:151], a[46:47], v[190:191], v[148:151]// 000000006798: D3F30094 0E537D2E
	s_waitcnt vmcnt(20)                                        // 0000000067A0: BF8C4F74
	v_mfma_f32_16x16x32_fp8_fp8 v[152:155], a[48:49], v[160:161], v[152:155]// 0000000067A4: D3F30098 0E634130
	buffer_load_dwordx4 a[112:115], v35, s[92:95], 0 offen     // 0000000067AC: E05C1000 80977023
	v_mfma_f32_16x16x32_fp8_fp8 v[152:155], a[50:51], v[162:163], v[152:155]// 0000000067B4: D3F30098 0E634532
	v_mfma_f32_16x16x32_fp8_fp8 v[152:155], a[52:53], v[164:165], v[152:155]// 0000000067BC: D3F30098 0E634934
	v_mfma_f32_16x16x32_fp8_fp8 v[152:155], a[54:55], v[166:167], v[152:155]// 0000000067C4: D3F30098 0E634D36
	v_mfma_f32_16x16x32_fp8_fp8 v[152:155], a[56:57], v[168:169], v[152:155]// 0000000067CC: D3F30098 0E635138
	buffer_load_dwordx4 a[116:119], v35, s[92:95], 0 offen offset:1024// 0000000067D4: E05C1400 80977423
	v_mfma_f32_16x16x32_fp8_fp8 v[152:155], a[58:59], v[170:171], v[152:155]// 0000000067DC: D3F30098 0E63553A
	v_mfma_f32_16x16x32_fp8_fp8 v[152:155], a[60:61], v[172:173], v[152:155]// 0000000067E4: D3F30098 0E63593C
	v_mfma_f32_16x16x32_fp8_fp8 v[152:155], a[62:63], v[174:175], v[152:155]// 0000000067EC: D3F30098 0E635D3E
	v_mfma_f32_16x16x32_fp8_fp8 v[156:159], a[48:49], v[176:177], v[156:159]// 0000000067F4: D3F3009C 0E736130
	buffer_load_dwordx4 a[120:123], v35, s[92:95], 0 offen offset:2048// 0000000067FC: E05C1800 80977823
	v_mfma_f32_16x16x32_fp8_fp8 v[156:159], a[50:51], v[178:179], v[156:159]// 000000006804: D3F3009C 0E736532
	v_mfma_f32_16x16x32_fp8_fp8 v[156:159], a[52:53], v[180:181], v[156:159]// 00000000680C: D3F3009C 0E736934
	v_mfma_f32_16x16x32_fp8_fp8 v[156:159], a[54:55], v[182:183], v[156:159]// 000000006814: D3F3009C 0E736D36
	v_mfma_f32_16x16x32_fp8_fp8 v[156:159], a[56:57], v[184:185], v[156:159]// 00000000681C: D3F3009C 0E737138
	buffer_load_dwordx4 a[124:127], v35, s[92:95], 0 offen offset:3072// 000000006824: E05C1C00 80977C23
	v_mfma_f32_16x16x32_fp8_fp8 v[156:159], a[58:59], v[186:187], v[156:159]// 00000000682C: D3F3009C 0E73753A
	v_mfma_f32_16x16x32_fp8_fp8 v[156:159], a[60:61], v[188:189], v[156:159]// 000000006834: D3F3009C 0E73793C
	v_mfma_f32_16x16x32_fp8_fp8 v[156:159], a[62:63], v[190:191], v[156:159]// 00000000683C: D3F3009C 0E737D3E
	s_waitcnt vmcnt(8)                                         // 000000006844: BF8C0F78
	s_barrier                                                  // 000000006848: BF8A0000
	v_mfma_f32_16x16x32_fp8_fp8 v[64:67], a[64:65], v[160:161], v[64:67]// 00000000684C: D3F30040 0D034140
	buffer_load_dwordx4 a[0:3], v32, s[24:27], 0 offen         // 000000006854: E05C1000 80860020
	v_mfma_f32_16x16x32_fp8_fp8 v[64:67], a[66:67], v[162:163], v[64:67]// 00000000685C: D3F30040 0D034542
	v_mfma_f32_16x16x32_fp8_fp8 v[64:67], a[68:69], v[164:165], v[64:67]// 000000006864: D3F30040 0D034944
	v_mfma_f32_16x16x32_fp8_fp8 v[64:67], a[70:71], v[166:167], v[64:67]// 00000000686C: D3F30040 0D034D46
	v_mfma_f32_16x16x32_fp8_fp8 v[64:67], a[72:73], v[168:169], v[64:67]// 000000006874: D3F30040 0D035148
	buffer_load_dwordx4 a[4:7], v32, s[24:27], 0 offen offset:1024// 00000000687C: E05C1400 80860420
	v_mfma_f32_16x16x32_fp8_fp8 v[64:67], a[74:75], v[170:171], v[64:67]// 000000006884: D3F30040 0D03554A
	v_mfma_f32_16x16x32_fp8_fp8 v[64:67], a[76:77], v[172:173], v[64:67]// 00000000688C: D3F30040 0D03594C
	v_mfma_f32_16x16x32_fp8_fp8 v[64:67], a[78:79], v[174:175], v[64:67]// 000000006894: D3F30040 0D035D4E
	v_mfma_f32_16x16x32_fp8_fp8 v[68:71], a[64:65], v[176:177], v[68:71]// 00000000689C: D3F30044 0D136140
	buffer_load_dwordx4 a[8:11], v32, s[24:27], 0 offen offset:2048// 0000000068A4: E05C1800 80860820
	v_mfma_f32_16x16x32_fp8_fp8 v[68:71], a[66:67], v[178:179], v[68:71]// 0000000068AC: D3F30044 0D136542
	v_mfma_f32_16x16x32_fp8_fp8 v[68:71], a[68:69], v[180:181], v[68:71]// 0000000068B4: D3F30044 0D136944
	v_mfma_f32_16x16x32_fp8_fp8 v[68:71], a[70:71], v[182:183], v[68:71]// 0000000068BC: D3F30044 0D136D46
	v_mfma_f32_16x16x32_fp8_fp8 v[68:71], a[72:73], v[184:185], v[68:71]// 0000000068C4: D3F30044 0D137148
	buffer_load_dwordx4 a[12:15], v32, s[24:27], 0 offen offset:3072// 0000000068CC: E05C1C00 80860C20
	v_mfma_f32_16x16x32_fp8_fp8 v[68:71], a[74:75], v[186:187], v[68:71]// 0000000068D4: D3F30044 0D13754A
	v_mfma_f32_16x16x32_fp8_fp8 v[68:71], a[76:77], v[188:189], v[68:71]// 0000000068DC: D3F30044 0D13794C
	v_mfma_f32_16x16x32_fp8_fp8 v[68:71], a[78:79], v[190:191], v[68:71]// 0000000068E4: D3F30044 0D137D4E
	v_mfma_f32_16x16x32_fp8_fp8 v[72:75], a[80:81], v[160:161], v[72:75]// 0000000068EC: D3F30048 0D234150
	buffer_load_dwordx4 a[16:19], v33, s[24:27], 0 offen       // 0000000068F4: E05C1000 80861021
	v_mfma_f32_16x16x32_fp8_fp8 v[72:75], a[82:83], v[162:163], v[72:75]// 0000000068FC: D3F30048 0D234552
	v_mfma_f32_16x16x32_fp8_fp8 v[72:75], a[84:85], v[164:165], v[72:75]// 000000006904: D3F30048 0D234954
	v_mfma_f32_16x16x32_fp8_fp8 v[72:75], a[86:87], v[166:167], v[72:75]// 00000000690C: D3F30048 0D234D56
	v_mfma_f32_16x16x32_fp8_fp8 v[72:75], a[88:89], v[168:169], v[72:75]// 000000006914: D3F30048 0D235158
	buffer_load_dwordx4 a[20:23], v33, s[24:27], 0 offen offset:1024// 00000000691C: E05C1400 80861421
	v_mfma_f32_16x16x32_fp8_fp8 v[72:75], a[90:91], v[170:171], v[72:75]// 000000006924: D3F30048 0D23555A
	v_mfma_f32_16x16x32_fp8_fp8 v[72:75], a[92:93], v[172:173], v[72:75]// 00000000692C: D3F30048 0D23595C
	v_mfma_f32_16x16x32_fp8_fp8 v[72:75], a[94:95], v[174:175], v[72:75]// 000000006934: D3F30048 0D235D5E
	v_mfma_f32_16x16x32_fp8_fp8 v[76:79], a[80:81], v[176:177], v[76:79]// 00000000693C: D3F3004C 0D336150
	buffer_load_dwordx4 a[24:27], v33, s[24:27], 0 offen offset:2048// 000000006944: E05C1800 80861821
	v_mfma_f32_16x16x32_fp8_fp8 v[76:79], a[82:83], v[178:179], v[76:79]// 00000000694C: D3F3004C 0D336552
	v_mfma_f32_16x16x32_fp8_fp8 v[76:79], a[84:85], v[180:181], v[76:79]// 000000006954: D3F3004C 0D336954
	v_mfma_f32_16x16x32_fp8_fp8 v[76:79], a[86:87], v[182:183], v[76:79]// 00000000695C: D3F3004C 0D336D56
	v_mfma_f32_16x16x32_fp8_fp8 v[76:79], a[88:89], v[184:185], v[76:79]// 000000006964: D3F3004C 0D337158
	buffer_load_dwordx4 a[28:31], v33, s[24:27], 0 offen offset:3072// 00000000696C: E05C1C00 80861C21
	v_mfma_f32_16x16x32_fp8_fp8 v[76:79], a[90:91], v[186:187], v[76:79]// 000000006974: D3F3004C 0D33755A
	v_mfma_f32_16x16x32_fp8_fp8 v[76:79], a[92:93], v[188:189], v[76:79]// 00000000697C: D3F3004C 0D33795C
	v_mfma_f32_16x16x32_fp8_fp8 v[76:79], a[94:95], v[190:191], v[76:79]// 000000006984: D3F3004C 0D337D5E
	s_waitcnt vmcnt(12)                                        // 00000000698C: BF8C0F7C
	v_mfma_f32_16x16x32_fp8_fp8 v[80:83], a[96:97], v[160:161], v[80:83]// 000000006990: D3F30050 0D434160
	buffer_load_dwordx4 a[32:35], v34, s[24:27], 0 offen       // 000000006998: E05C1000 80862022
	v_mfma_f32_16x16x32_fp8_fp8 v[80:83], a[98:99], v[162:163], v[80:83]// 0000000069A0: D3F30050 0D434562
	v_mfma_f32_16x16x32_fp8_fp8 v[80:83], a[100:101], v[164:165], v[80:83]// 0000000069A8: D3F30050 0D434964
	ds_read_b128 v[192:195], v2 offset:8320                    // 0000000069B0: D9FE2080 C0000002
	v_mfma_f32_16x16x32_fp8_fp8 v[80:83], a[102:103], v[166:167], v[80:83]// 0000000069B8: D3F30050 0D434D66
	v_mfma_f32_16x16x32_fp8_fp8 v[80:83], a[104:105], v[168:169], v[80:83]// 0000000069C0: D3F30050 0D435168
	buffer_load_dwordx4 a[36:39], v34, s[24:27], 0 offen offset:1024// 0000000069C8: E05C1400 80862422
	v_mfma_f32_16x16x32_fp8_fp8 v[80:83], a[106:107], v[170:171], v[80:83]// 0000000069D0: D3F30050 0D43556A
	v_mfma_f32_16x16x32_fp8_fp8 v[80:83], a[108:109], v[172:173], v[80:83]// 0000000069D8: D3F30050 0D43596C
	ds_read_b128 v[196:199], v2 offset:8384                    // 0000000069E0: D9FE20C0 C4000002
	v_mfma_f32_16x16x32_fp8_fp8 v[80:83], a[110:111], v[174:175], v[80:83]// 0000000069E8: D3F30050 0D435D6E
	v_mfma_f32_16x16x32_fp8_fp8 v[84:87], a[96:97], v[176:177], v[84:87]// 0000000069F0: D3F30054 0D536160
	buffer_load_dwordx4 a[40:43], v34, s[24:27], 0 offen offset:2048// 0000000069F8: E05C1800 80862822
	v_mfma_f32_16x16x32_fp8_fp8 v[84:87], a[98:99], v[178:179], v[84:87]// 000000006A00: D3F30054 0D536562
	v_mfma_f32_16x16x32_fp8_fp8 v[84:87], a[100:101], v[180:181], v[84:87]// 000000006A08: D3F30054 0D536964
	ds_read_b128 v[200:203], v2 offset:8448                    // 000000006A10: D9FE2100 C8000002
	v_mfma_f32_16x16x32_fp8_fp8 v[84:87], a[102:103], v[182:183], v[84:87]// 000000006A18: D3F30054 0D536D66
	v_mfma_f32_16x16x32_fp8_fp8 v[84:87], a[104:105], v[184:185], v[84:87]// 000000006A20: D3F30054 0D537168
	buffer_load_dwordx4 a[44:47], v34, s[24:27], 0 offen offset:3072// 000000006A28: E05C1C00 80862C22
	v_mfma_f32_16x16x32_fp8_fp8 v[84:87], a[106:107], v[186:187], v[84:87]// 000000006A30: D3F30054 0D53756A
	v_mfma_f32_16x16x32_fp8_fp8 v[84:87], a[108:109], v[188:189], v[84:87]// 000000006A38: D3F30054 0D53796C
	ds_read_b128 v[204:207], v2 offset:8512                    // 000000006A40: D9FE2140 CC000002
	v_mfma_f32_16x16x32_fp8_fp8 v[84:87], a[110:111], v[190:191], v[84:87]// 000000006A48: D3F30054 0D537D6E
	s_waitcnt vmcnt(12)                                        // 000000006A50: BF8C0F7C
	v_mfma_f32_16x16x32_fp8_fp8 v[88:91], a[112:113], v[160:161], v[88:91]// 000000006A54: D3F30058 0D634170
	buffer_load_dwordx4 a[48:51], v35, s[24:27], 0 offen       // 000000006A5C: E05C1000 80863023
	v_mfma_f32_16x16x32_fp8_fp8 v[88:91], a[114:115], v[162:163], v[88:91]// 000000006A64: D3F30058 0D634572
	v_mfma_f32_16x16x32_fp8_fp8 v[88:91], a[116:117], v[164:165], v[88:91]// 000000006A6C: D3F30058 0D634974
	ds_read_b128 v[208:211], v2 offset:9344                    // 000000006A74: D9FE2480 D0000002
	v_mfma_f32_16x16x32_fp8_fp8 v[88:91], a[118:119], v[166:167], v[88:91]// 000000006A7C: D3F30058 0D634D76
	v_mfma_f32_16x16x32_fp8_fp8 v[88:91], a[120:121], v[168:169], v[88:91]// 000000006A84: D3F30058 0D635178
	buffer_load_dwordx4 a[52:55], v35, s[24:27], 0 offen offset:1024// 000000006A8C: E05C1400 80863423
	v_mfma_f32_16x16x32_fp8_fp8 v[88:91], a[122:123], v[170:171], v[88:91]// 000000006A94: D3F30058 0D63557A
	v_mfma_f32_16x16x32_fp8_fp8 v[88:91], a[124:125], v[172:173], v[88:91]// 000000006A9C: D3F30058 0D63597C
	ds_read_b128 v[212:215], v2 offset:9408                    // 000000006AA4: D9FE24C0 D4000002
	v_mfma_f32_16x16x32_fp8_fp8 v[88:91], a[126:127], v[174:175], v[88:91]// 000000006AAC: D3F30058 0D635D7E
	v_mfma_f32_16x16x32_fp8_fp8 v[92:95], a[112:113], v[176:177], v[92:95]// 000000006AB4: D3F3005C 0D736170
	buffer_load_dwordx4 a[56:59], v35, s[24:27], 0 offen offset:2048// 000000006ABC: E05C1800 80863823
	v_mfma_f32_16x16x32_fp8_fp8 v[92:95], a[114:115], v[178:179], v[92:95]// 000000006AC4: D3F3005C 0D736572
	v_mfma_f32_16x16x32_fp8_fp8 v[92:95], a[116:117], v[180:181], v[92:95]// 000000006ACC: D3F3005C 0D736974
	ds_read_b128 v[216:219], v2 offset:9472                    // 000000006AD4: D9FE2500 D8000002
	v_mfma_f32_16x16x32_fp8_fp8 v[92:95], a[118:119], v[182:183], v[92:95]// 000000006ADC: D3F3005C 0D736D76
	v_mfma_f32_16x16x32_fp8_fp8 v[92:95], a[120:121], v[184:185], v[92:95]// 000000006AE4: D3F3005C 0D737178
	buffer_load_dwordx4 a[60:63], v35, s[24:27], 0 offen offset:3072// 000000006AEC: E05C1C00 80863C23
	v_mfma_f32_16x16x32_fp8_fp8 v[92:95], a[122:123], v[186:187], v[92:95]// 000000006AF4: D3F3005C 0D73757A
	v_mfma_f32_16x16x32_fp8_fp8 v[92:95], a[124:125], v[188:189], v[92:95]// 000000006AFC: D3F3005C 0D73797C
	ds_read_b128 v[220:223], v2 offset:9536                    // 000000006B04: D9FE2540 DC000002
	v_mfma_f32_16x16x32_fp8_fp8 v[92:95], a[126:127], v[190:191], v[92:95]// 000000006B0C: D3F3005C 0D737D7E
	s_add_u32 s60, 0x200, s80                                  // 000000006B14: 803C50FF 00000200
	s_cmp_lt_u32 s60, s81                                      // 000000006B1C: BF0A513C
	s_cselect_b32 s57, s57, 0                                  // 000000006B20: 85398039
	s_add_u32 s60, 0x200, s80                                  // 000000006B24: 803C50FF 00000200
	s_cmp_lt_u32 s60, s81                                      // 000000006B2C: BF0A513C
	s_cselect_b32 s58, s58, 0                                  // 000000006B30: 853A803A
	s_add_u32 s20, s57, s20                                    // 000000006B34: 80141439
	s_addc_u32 s21, 0, s21                                     // 000000006B38: 82151580
	s_add_u32 s24, s58, s24                                    // 000000006B3C: 8018183A
	s_addc_u32 s25, 0, s25                                     // 000000006B40: 82191980
	s_add_u32 s92, s90, s92                                    // 000000006B44: 805C5C5A
	s_addc_u32 s93, 0, s93                                     // 000000006B48: 825D5D80
	s_addk_i32 s80, 0x100                                      // 000000006B4C: B7500100
	s_cmp_lt_i32 s80, s81                                      // 000000006B50: BF045150
	s_cbranch_scc0 label_10DF                                  // 000000006B54: BF840189
	s_waitcnt vmcnt(8) lgkmcnt(0)                              // 000000006B58: BF8C0078
	s_barrier                                                  // 000000006B5C: BF8A0000
	v_mfma_f32_16x16x32_fp8_fp8 v[128:131], a[0:1], v[192:193], v[128:131]// 000000006B60: D3F30080 0E038100
	buffer_load_dwordx4 a[64:67], v32, s[92:95], 0 offen       // 000000006B68: E05C1000 80974020
	v_mfma_f32_16x16x32_fp8_fp8 v[128:131], a[2:3], v[194:195], v[128:131]// 000000006B70: D3F30080 0E038502
	v_mfma_f32_16x16x32_fp8_fp8 v[128:131], a[4:5], v[196:197], v[128:131]// 000000006B78: D3F30080 0E038904
	buffer_load_dword v24, s[20:23], 0 offen lds               // 000000006B80: E0511000 80050018
	s_add_u32 m0, 0x100, s50                                   // 000000006B88: 807C32FF 00000100
	v_mfma_f32_16x16x32_fp8_fp8 v[128:131], a[6:7], v[198:199], v[128:131]// 000000006B90: D3F30080 0E038D06
	v_mfma_f32_16x16x32_fp8_fp8 v[128:131], a[8:9], v[200:201], v[128:131]// 000000006B98: D3F30080 0E039108
	buffer_load_dwordx4 a[68:71], v32, s[92:95], 0 offen offset:1024// 000000006BA0: E05C1400 80974420
	v_mfma_f32_16x16x32_fp8_fp8 v[128:131], a[10:11], v[202:203], v[128:131]// 000000006BA8: D3F30080 0E03950A
	v_mfma_f32_16x16x32_fp8_fp8 v[128:131], a[12:13], v[204:205], v[128:131]// 000000006BB0: D3F30080 0E03990C
	buffer_load_dword v25, s[20:23], 0 offen lds               // 000000006BB8: E0511000 80050019
	s_add_u32 m0, 0x200, s50                                   // 000000006BC0: 807C32FF 00000200
	v_mfma_f32_16x16x32_fp8_fp8 v[128:131], a[14:15], v[206:207], v[128:131]// 000000006BC8: D3F30080 0E039D0E
	v_mfma_f32_16x16x32_fp8_fp8 v[132:135], a[0:1], v[208:209], v[132:135]// 000000006BD0: D3F30084 0E13A100
	buffer_load_dwordx4 a[72:75], v32, s[92:95], 0 offen offset:2048// 000000006BD8: E05C1800 80974820
	v_mfma_f32_16x16x32_fp8_fp8 v[132:135], a[2:3], v[210:211], v[132:135]// 000000006BE0: D3F30084 0E13A502
	v_mfma_f32_16x16x32_fp8_fp8 v[132:135], a[4:5], v[212:213], v[132:135]// 000000006BE8: D3F30084 0E13A904
	buffer_load_dword v26, s[20:23], 0 offen lds               // 000000006BF0: E0511000 8005001A
	s_add_u32 m0, 0x300, s50                                   // 000000006BF8: 807C32FF 00000300
	v_mfma_f32_16x16x32_fp8_fp8 v[132:135], a[6:7], v[214:215], v[132:135]// 000000006C00: D3F30084 0E13AD06
	v_mfma_f32_16x16x32_fp8_fp8 v[132:135], a[8:9], v[216:217], v[132:135]// 000000006C08: D3F30084 0E13B108
	buffer_load_dwordx4 a[76:79], v32, s[92:95], 0 offen offset:3072// 000000006C10: E05C1C00 80974C20
	v_mfma_f32_16x16x32_fp8_fp8 v[132:135], a[10:11], v[218:219], v[132:135]// 000000006C18: D3F30084 0E13B50A
	v_mfma_f32_16x16x32_fp8_fp8 v[132:135], a[12:13], v[220:221], v[132:135]// 000000006C20: D3F30084 0E13B90C
	buffer_load_dword v27, s[20:23], 0 offen lds               // 000000006C28: E0511000 8005001B
	s_add_u32 m0, 0x400, s50                                   // 000000006C30: 807C32FF 00000400
	v_mfma_f32_16x16x32_fp8_fp8 v[132:135], a[14:15], v[222:223], v[132:135]// 000000006C38: D3F30084 0E13BD0E
	v_mfma_f32_16x16x32_fp8_fp8 v[136:139], a[16:17], v[192:193], v[136:139]// 000000006C40: D3F30088 0E238110
	buffer_load_dwordx4 a[80:83], v33, s[92:95], 0 offen       // 000000006C48: E05C1000 80975021
	v_mfma_f32_16x16x32_fp8_fp8 v[136:139], a[18:19], v[194:195], v[136:139]// 000000006C50: D3F30088 0E238512
	v_mfma_f32_16x16x32_fp8_fp8 v[136:139], a[20:21], v[196:197], v[136:139]// 000000006C58: D3F30088 0E238914
	buffer_load_dword v28, s[20:23], 0 offen lds               // 000000006C60: E0511000 8005001C
	s_add_u32 m0, 0x500, s50                                   // 000000006C68: 807C32FF 00000500
	v_mfma_f32_16x16x32_fp8_fp8 v[136:139], a[22:23], v[198:199], v[136:139]// 000000006C70: D3F30088 0E238D16
	v_mfma_f32_16x16x32_fp8_fp8 v[136:139], a[24:25], v[200:201], v[136:139]// 000000006C78: D3F30088 0E239118
	buffer_load_dwordx4 a[84:87], v33, s[92:95], 0 offen offset:1024// 000000006C80: E05C1400 80975421
	v_mfma_f32_16x16x32_fp8_fp8 v[136:139], a[26:27], v[202:203], v[136:139]// 000000006C88: D3F30088 0E23951A
	v_mfma_f32_16x16x32_fp8_fp8 v[136:139], a[28:29], v[204:205], v[136:139]// 000000006C90: D3F30088 0E23991C
	buffer_load_dword v29, s[20:23], 0 offen lds               // 000000006C98: E0511000 8005001D
	s_add_u32 m0, 0x600, s50                                   // 000000006CA0: 807C32FF 00000600
	v_mfma_f32_16x16x32_fp8_fp8 v[136:139], a[30:31], v[206:207], v[136:139]// 000000006CA8: D3F30088 0E239D1E
	v_mfma_f32_16x16x32_fp8_fp8 v[140:143], a[16:17], v[208:209], v[140:143]// 000000006CB0: D3F3008C 0E33A110
	buffer_load_dwordx4 a[88:91], v33, s[92:95], 0 offen offset:2048// 000000006CB8: E05C1800 80975821
	v_mfma_f32_16x16x32_fp8_fp8 v[140:143], a[18:19], v[210:211], v[140:143]// 000000006CC0: D3F3008C 0E33A512
	v_mfma_f32_16x16x32_fp8_fp8 v[140:143], a[20:21], v[212:213], v[140:143]// 000000006CC8: D3F3008C 0E33A914
	buffer_load_dword v30, s[20:23], 0 offen lds               // 000000006CD0: E0511000 8005001E
	s_add_u32 m0, 0x700, s50                                   // 000000006CD8: 807C32FF 00000700
	v_mfma_f32_16x16x32_fp8_fp8 v[140:143], a[22:23], v[214:215], v[140:143]// 000000006CE0: D3F3008C 0E33AD16
	v_mfma_f32_16x16x32_fp8_fp8 v[140:143], a[24:25], v[216:217], v[140:143]// 000000006CE8: D3F3008C 0E33B118
	buffer_load_dwordx4 a[92:95], v33, s[92:95], 0 offen offset:3072// 000000006CF0: E05C1C00 80975C21
	v_mfma_f32_16x16x32_fp8_fp8 v[140:143], a[26:27], v[218:219], v[140:143]// 000000006CF8: D3F3008C 0E33B51A
	v_mfma_f32_16x16x32_fp8_fp8 v[140:143], a[28:29], v[220:221], v[140:143]// 000000006D00: D3F3008C 0E33B91C
	buffer_load_dword v31, s[20:23], 0 offen lds               // 000000006D08: E0511000 8005001F
	s_add_u32 m0, 0, s51                                       // 000000006D10: 807C3380
	v_mfma_f32_16x16x32_fp8_fp8 v[140:143], a[30:31], v[222:223], v[140:143]// 000000006D14: D3F3008C 0E33BD1E
	s_waitcnt vmcnt(20)                                        // 000000006D1C: BF8C4F74
	v_mfma_f32_16x16x32_fp8_fp8 v[144:147], a[32:33], v[192:193], v[144:147]// 000000006D20: D3F30090 0E438120
	buffer_load_dwordx4 a[96:99], v34, s[92:95], 0 offen       // 000000006D28: E05C1000 80976022
	v_mfma_f32_16x16x32_fp8_fp8 v[144:147], a[34:35], v[194:195], v[144:147]// 000000006D30: D3F30090 0E438522
	v_mfma_f32_16x16x32_fp8_fp8 v[144:147], a[36:37], v[196:197], v[144:147]// 000000006D38: D3F30090 0E438924
	v_mfma_f32_16x16x32_fp8_fp8 v[144:147], a[38:39], v[198:199], v[144:147]// 000000006D40: D3F30090 0E438D26
	v_mfma_f32_16x16x32_fp8_fp8 v[144:147], a[40:41], v[200:201], v[144:147]// 000000006D48: D3F30090 0E439128
	buffer_load_dwordx4 a[100:103], v34, s[92:95], 0 offen offset:1024// 000000006D50: E05C1400 80976422
	v_mfma_f32_16x16x32_fp8_fp8 v[144:147], a[42:43], v[202:203], v[144:147]// 000000006D58: D3F30090 0E43952A
	v_mfma_f32_16x16x32_fp8_fp8 v[144:147], a[44:45], v[204:205], v[144:147]// 000000006D60: D3F30090 0E43992C
	v_mfma_f32_16x16x32_fp8_fp8 v[144:147], a[46:47], v[206:207], v[144:147]// 000000006D68: D3F30090 0E439D2E
	v_mfma_f32_16x16x32_fp8_fp8 v[148:151], a[32:33], v[208:209], v[148:151]// 000000006D70: D3F30094 0E53A120
	buffer_load_dwordx4 a[104:107], v34, s[92:95], 0 offen offset:2048// 000000006D78: E05C1800 80976822
	v_mfma_f32_16x16x32_fp8_fp8 v[148:151], a[34:35], v[210:211], v[148:151]// 000000006D80: D3F30094 0E53A522
	v_mfma_f32_16x16x32_fp8_fp8 v[148:151], a[36:37], v[212:213], v[148:151]// 000000006D88: D3F30094 0E53A924
	v_mfma_f32_16x16x32_fp8_fp8 v[148:151], a[38:39], v[214:215], v[148:151]// 000000006D90: D3F30094 0E53AD26
	v_mfma_f32_16x16x32_fp8_fp8 v[148:151], a[40:41], v[216:217], v[148:151]// 000000006D98: D3F30094 0E53B128
	buffer_load_dwordx4 a[108:111], v34, s[92:95], 0 offen offset:3072// 000000006DA0: E05C1C00 80976C22
	v_mfma_f32_16x16x32_fp8_fp8 v[148:151], a[42:43], v[218:219], v[148:151]// 000000006DA8: D3F30094 0E53B52A
	v_mfma_f32_16x16x32_fp8_fp8 v[148:151], a[44:45], v[220:221], v[148:151]// 000000006DB0: D3F30094 0E53B92C
	v_mfma_f32_16x16x32_fp8_fp8 v[148:151], a[46:47], v[222:223], v[148:151]// 000000006DB8: D3F30094 0E53BD2E
	s_waitcnt vmcnt(20)                                        // 000000006DC0: BF8C4F74
	v_mfma_f32_16x16x32_fp8_fp8 v[152:155], a[48:49], v[192:193], v[152:155]// 000000006DC4: D3F30098 0E638130
	buffer_load_dwordx4 a[112:115], v35, s[92:95], 0 offen     // 000000006DCC: E05C1000 80977023
	v_mfma_f32_16x16x32_fp8_fp8 v[152:155], a[50:51], v[194:195], v[152:155]// 000000006DD4: D3F30098 0E638532
	v_mfma_f32_16x16x32_fp8_fp8 v[152:155], a[52:53], v[196:197], v[152:155]// 000000006DDC: D3F30098 0E638934
	v_mfma_f32_16x16x32_fp8_fp8 v[152:155], a[54:55], v[198:199], v[152:155]// 000000006DE4: D3F30098 0E638D36
	v_mfma_f32_16x16x32_fp8_fp8 v[152:155], a[56:57], v[200:201], v[152:155]// 000000006DEC: D3F30098 0E639138
	buffer_load_dwordx4 a[116:119], v35, s[92:95], 0 offen offset:1024// 000000006DF4: E05C1400 80977423
	v_mfma_f32_16x16x32_fp8_fp8 v[152:155], a[58:59], v[202:203], v[152:155]// 000000006DFC: D3F30098 0E63953A
	v_mfma_f32_16x16x32_fp8_fp8 v[152:155], a[60:61], v[204:205], v[152:155]// 000000006E04: D3F30098 0E63993C
	v_mfma_f32_16x16x32_fp8_fp8 v[152:155], a[62:63], v[206:207], v[152:155]// 000000006E0C: D3F30098 0E639D3E
	v_mfma_f32_16x16x32_fp8_fp8 v[156:159], a[48:49], v[208:209], v[156:159]// 000000006E14: D3F3009C 0E73A130
	buffer_load_dwordx4 a[120:123], v35, s[92:95], 0 offen offset:2048// 000000006E1C: E05C1800 80977823
	v_mfma_f32_16x16x32_fp8_fp8 v[156:159], a[50:51], v[210:211], v[156:159]// 000000006E24: D3F3009C 0E73A532
	v_mfma_f32_16x16x32_fp8_fp8 v[156:159], a[52:53], v[212:213], v[156:159]// 000000006E2C: D3F3009C 0E73A934
	v_mfma_f32_16x16x32_fp8_fp8 v[156:159], a[54:55], v[214:215], v[156:159]// 000000006E34: D3F3009C 0E73AD36
	v_mfma_f32_16x16x32_fp8_fp8 v[156:159], a[56:57], v[216:217], v[156:159]// 000000006E3C: D3F3009C 0E73B138
	buffer_load_dwordx4 a[124:127], v35, s[92:95], 0 offen offset:3072// 000000006E44: E05C1C00 80977C23
	v_mfma_f32_16x16x32_fp8_fp8 v[156:159], a[58:59], v[218:219], v[156:159]// 000000006E4C: D3F3009C 0E73B53A
	v_mfma_f32_16x16x32_fp8_fp8 v[156:159], a[60:61], v[220:221], v[156:159]// 000000006E54: D3F3009C 0E73B93C
	v_mfma_f32_16x16x32_fp8_fp8 v[156:159], a[62:63], v[222:223], v[156:159]// 000000006E5C: D3F3009C 0E73BD3E
	s_waitcnt vmcnt(8)                                         // 000000006E64: BF8C0F78
	s_barrier                                                  // 000000006E68: BF8A0000
	v_mfma_f32_16x16x32_fp8_fp8 v[64:67], a[64:65], v[192:193], v[64:67]// 000000006E6C: D3F30040 0D038140
	buffer_load_dwordx4 a[0:3], v32, s[24:27], 0 offen         // 000000006E74: E05C1000 80860020
	v_mfma_f32_16x16x32_fp8_fp8 v[64:67], a[66:67], v[194:195], v[64:67]// 000000006E7C: D3F30040 0D038542
	v_mfma_f32_16x16x32_fp8_fp8 v[64:67], a[68:69], v[196:197], v[64:67]// 000000006E84: D3F30040 0D038944
	v_mfma_f32_16x16x32_fp8_fp8 v[64:67], a[70:71], v[198:199], v[64:67]// 000000006E8C: D3F30040 0D038D46
	v_mfma_f32_16x16x32_fp8_fp8 v[64:67], a[72:73], v[200:201], v[64:67]// 000000006E94: D3F30040 0D039148
	buffer_load_dwordx4 a[4:7], v32, s[24:27], 0 offen offset:1024// 000000006E9C: E05C1400 80860420
	v_mfma_f32_16x16x32_fp8_fp8 v[64:67], a[74:75], v[202:203], v[64:67]// 000000006EA4: D3F30040 0D03954A
	v_mfma_f32_16x16x32_fp8_fp8 v[64:67], a[76:77], v[204:205], v[64:67]// 000000006EAC: D3F30040 0D03994C
	v_mfma_f32_16x16x32_fp8_fp8 v[64:67], a[78:79], v[206:207], v[64:67]// 000000006EB4: D3F30040 0D039D4E
	v_mfma_f32_16x16x32_fp8_fp8 v[68:71], a[64:65], v[208:209], v[68:71]// 000000006EBC: D3F30044 0D13A140
	buffer_load_dwordx4 a[8:11], v32, s[24:27], 0 offen offset:2048// 000000006EC4: E05C1800 80860820
	v_mfma_f32_16x16x32_fp8_fp8 v[68:71], a[66:67], v[210:211], v[68:71]// 000000006ECC: D3F30044 0D13A542
	v_mfma_f32_16x16x32_fp8_fp8 v[68:71], a[68:69], v[212:213], v[68:71]// 000000006ED4: D3F30044 0D13A944
	v_mfma_f32_16x16x32_fp8_fp8 v[68:71], a[70:71], v[214:215], v[68:71]// 000000006EDC: D3F30044 0D13AD46
	v_mfma_f32_16x16x32_fp8_fp8 v[68:71], a[72:73], v[216:217], v[68:71]// 000000006EE4: D3F30044 0D13B148
	buffer_load_dwordx4 a[12:15], v32, s[24:27], 0 offen offset:3072// 000000006EEC: E05C1C00 80860C20
	v_mfma_f32_16x16x32_fp8_fp8 v[68:71], a[74:75], v[218:219], v[68:71]// 000000006EF4: D3F30044 0D13B54A
	v_mfma_f32_16x16x32_fp8_fp8 v[68:71], a[76:77], v[220:221], v[68:71]// 000000006EFC: D3F30044 0D13B94C
	v_mfma_f32_16x16x32_fp8_fp8 v[68:71], a[78:79], v[222:223], v[68:71]// 000000006F04: D3F30044 0D13BD4E
	v_mfma_f32_16x16x32_fp8_fp8 v[72:75], a[80:81], v[192:193], v[72:75]// 000000006F0C: D3F30048 0D238150
	buffer_load_dwordx4 a[16:19], v33, s[24:27], 0 offen       // 000000006F14: E05C1000 80861021
	v_mfma_f32_16x16x32_fp8_fp8 v[72:75], a[82:83], v[194:195], v[72:75]// 000000006F1C: D3F30048 0D238552
	v_mfma_f32_16x16x32_fp8_fp8 v[72:75], a[84:85], v[196:197], v[72:75]// 000000006F24: D3F30048 0D238954
	v_mfma_f32_16x16x32_fp8_fp8 v[72:75], a[86:87], v[198:199], v[72:75]// 000000006F2C: D3F30048 0D238D56
	v_mfma_f32_16x16x32_fp8_fp8 v[72:75], a[88:89], v[200:201], v[72:75]// 000000006F34: D3F30048 0D239158
	buffer_load_dwordx4 a[20:23], v33, s[24:27], 0 offen offset:1024// 000000006F3C: E05C1400 80861421
	v_mfma_f32_16x16x32_fp8_fp8 v[72:75], a[90:91], v[202:203], v[72:75]// 000000006F44: D3F30048 0D23955A
	v_mfma_f32_16x16x32_fp8_fp8 v[72:75], a[92:93], v[204:205], v[72:75]// 000000006F4C: D3F30048 0D23995C
	v_mfma_f32_16x16x32_fp8_fp8 v[72:75], a[94:95], v[206:207], v[72:75]// 000000006F54: D3F30048 0D239D5E
	v_mfma_f32_16x16x32_fp8_fp8 v[76:79], a[80:81], v[208:209], v[76:79]// 000000006F5C: D3F3004C 0D33A150
	buffer_load_dwordx4 a[24:27], v33, s[24:27], 0 offen offset:2048// 000000006F64: E05C1800 80861821
	v_mfma_f32_16x16x32_fp8_fp8 v[76:79], a[82:83], v[210:211], v[76:79]// 000000006F6C: D3F3004C 0D33A552
	v_mfma_f32_16x16x32_fp8_fp8 v[76:79], a[84:85], v[212:213], v[76:79]// 000000006F74: D3F3004C 0D33A954
	v_mfma_f32_16x16x32_fp8_fp8 v[76:79], a[86:87], v[214:215], v[76:79]// 000000006F7C: D3F3004C 0D33AD56
	v_mfma_f32_16x16x32_fp8_fp8 v[76:79], a[88:89], v[216:217], v[76:79]// 000000006F84: D3F3004C 0D33B158
	buffer_load_dwordx4 a[28:31], v33, s[24:27], 0 offen offset:3072// 000000006F8C: E05C1C00 80861C21
	v_mfma_f32_16x16x32_fp8_fp8 v[76:79], a[90:91], v[218:219], v[76:79]// 000000006F94: D3F3004C 0D33B55A
	v_mfma_f32_16x16x32_fp8_fp8 v[76:79], a[92:93], v[220:221], v[76:79]// 000000006F9C: D3F3004C 0D33B95C
	v_mfma_f32_16x16x32_fp8_fp8 v[76:79], a[94:95], v[222:223], v[76:79]// 000000006FA4: D3F3004C 0D33BD5E
	s_waitcnt vmcnt(12)                                        // 000000006FAC: BF8C0F7C
	v_mfma_f32_16x16x32_fp8_fp8 v[80:83], a[96:97], v[192:193], v[80:83]// 000000006FB0: D3F30050 0D438160
	buffer_load_dwordx4 a[32:35], v34, s[24:27], 0 offen       // 000000006FB8: E05C1000 80862022
	v_mfma_f32_16x16x32_fp8_fp8 v[80:83], a[98:99], v[194:195], v[80:83]// 000000006FC0: D3F30050 0D438562
	v_mfma_f32_16x16x32_fp8_fp8 v[80:83], a[100:101], v[196:197], v[80:83]// 000000006FC8: D3F30050 0D438964
	ds_read_b128 v[160:163], v2                                // 000000006FD0: D9FE0000 A0000002
	v_mfma_f32_16x16x32_fp8_fp8 v[80:83], a[102:103], v[198:199], v[80:83]// 000000006FD8: D3F30050 0D438D66
	v_mfma_f32_16x16x32_fp8_fp8 v[80:83], a[104:105], v[200:201], v[80:83]// 000000006FE0: D3F30050 0D439168
	buffer_load_dwordx4 a[36:39], v34, s[24:27], 0 offen offset:1024// 000000006FE8: E05C1400 80862422
	v_mfma_f32_16x16x32_fp8_fp8 v[80:83], a[106:107], v[202:203], v[80:83]// 000000006FF0: D3F30050 0D43956A
	v_mfma_f32_16x16x32_fp8_fp8 v[80:83], a[108:109], v[204:205], v[80:83]// 000000006FF8: D3F30050 0D43996C
	ds_read_b128 v[164:167], v2 offset:64                      // 000000007000: D9FE0040 A4000002
	v_mfma_f32_16x16x32_fp8_fp8 v[80:83], a[110:111], v[206:207], v[80:83]// 000000007008: D3F30050 0D439D6E
	v_mfma_f32_16x16x32_fp8_fp8 v[84:87], a[96:97], v[208:209], v[84:87]// 000000007010: D3F30054 0D53A160
	buffer_load_dwordx4 a[40:43], v34, s[24:27], 0 offen offset:2048// 000000007018: E05C1800 80862822
	v_mfma_f32_16x16x32_fp8_fp8 v[84:87], a[98:99], v[210:211], v[84:87]// 000000007020: D3F30054 0D53A562
	v_mfma_f32_16x16x32_fp8_fp8 v[84:87], a[100:101], v[212:213], v[84:87]// 000000007028: D3F30054 0D53A964
	ds_read_b128 v[168:171], v2 offset:128                     // 000000007030: D9FE0080 A8000002
	v_mfma_f32_16x16x32_fp8_fp8 v[84:87], a[102:103], v[214:215], v[84:87]// 000000007038: D3F30054 0D53AD66
	v_mfma_f32_16x16x32_fp8_fp8 v[84:87], a[104:105], v[216:217], v[84:87]// 000000007040: D3F30054 0D53B168
	buffer_load_dwordx4 a[44:47], v34, s[24:27], 0 offen offset:3072// 000000007048: E05C1C00 80862C22
	v_mfma_f32_16x16x32_fp8_fp8 v[84:87], a[106:107], v[218:219], v[84:87]// 000000007050: D3F30054 0D53B56A
	v_mfma_f32_16x16x32_fp8_fp8 v[84:87], a[108:109], v[220:221], v[84:87]// 000000007058: D3F30054 0D53B96C
	ds_read_b128 v[172:175], v2 offset:192                     // 000000007060: D9FE00C0 AC000002
	v_mfma_f32_16x16x32_fp8_fp8 v[84:87], a[110:111], v[222:223], v[84:87]// 000000007068: D3F30054 0D53BD6E
	s_waitcnt vmcnt(12)                                        // 000000007070: BF8C0F7C
	v_mfma_f32_16x16x32_fp8_fp8 v[88:91], a[112:113], v[192:193], v[88:91]// 000000007074: D3F30058 0D638170
	buffer_load_dwordx4 a[48:51], v35, s[24:27], 0 offen       // 00000000707C: E05C1000 80863023
	v_mfma_f32_16x16x32_fp8_fp8 v[88:91], a[114:115], v[194:195], v[88:91]// 000000007084: D3F30058 0D638572
	v_mfma_f32_16x16x32_fp8_fp8 v[88:91], a[116:117], v[196:197], v[88:91]// 00000000708C: D3F30058 0D638974
	ds_read_b128 v[176:179], v2 offset:1024                    // 000000007094: D9FE0400 B0000002
	v_mfma_f32_16x16x32_fp8_fp8 v[88:91], a[118:119], v[198:199], v[88:91]// 00000000709C: D3F30058 0D638D76
	v_mfma_f32_16x16x32_fp8_fp8 v[88:91], a[120:121], v[200:201], v[88:91]// 0000000070A4: D3F30058 0D639178
	buffer_load_dwordx4 a[52:55], v35, s[24:27], 0 offen offset:1024// 0000000070AC: E05C1400 80863423
	v_mfma_f32_16x16x32_fp8_fp8 v[88:91], a[122:123], v[202:203], v[88:91]// 0000000070B4: D3F30058 0D63957A
	v_mfma_f32_16x16x32_fp8_fp8 v[88:91], a[124:125], v[204:205], v[88:91]// 0000000070BC: D3F30058 0D63997C
	ds_read_b128 v[180:183], v2 offset:1088                    // 0000000070C4: D9FE0440 B4000002
	v_mfma_f32_16x16x32_fp8_fp8 v[88:91], a[126:127], v[206:207], v[88:91]// 0000000070CC: D3F30058 0D639D7E
	v_mfma_f32_16x16x32_fp8_fp8 v[92:95], a[112:113], v[208:209], v[92:95]// 0000000070D4: D3F3005C 0D73A170
	buffer_load_dwordx4 a[56:59], v35, s[24:27], 0 offen offset:2048// 0000000070DC: E05C1800 80863823
	v_mfma_f32_16x16x32_fp8_fp8 v[92:95], a[114:115], v[210:211], v[92:95]// 0000000070E4: D3F3005C 0D73A572
	v_mfma_f32_16x16x32_fp8_fp8 v[92:95], a[116:117], v[212:213], v[92:95]// 0000000070EC: D3F3005C 0D73A974
	ds_read_b128 v[184:187], v2 offset:1152                    // 0000000070F4: D9FE0480 B8000002
	v_mfma_f32_16x16x32_fp8_fp8 v[92:95], a[118:119], v[214:215], v[92:95]// 0000000070FC: D3F3005C 0D73AD76
	v_mfma_f32_16x16x32_fp8_fp8 v[92:95], a[120:121], v[216:217], v[92:95]// 000000007104: D3F3005C 0D73B178
	buffer_load_dwordx4 a[60:63], v35, s[24:27], 0 offen offset:3072// 00000000710C: E05C1C00 80863C23
	v_mfma_f32_16x16x32_fp8_fp8 v[92:95], a[122:123], v[218:219], v[92:95]// 000000007114: D3F3005C 0D73B57A
	v_mfma_f32_16x16x32_fp8_fp8 v[92:95], a[124:125], v[220:221], v[92:95]// 00000000711C: D3F3005C 0D73B97C
	ds_read_b128 v[188:191], v2 offset:1216                    // 000000007124: D9FE04C0 BC000002
	v_mfma_f32_16x16x32_fp8_fp8 v[92:95], a[126:127], v[222:223], v[92:95]// 00000000712C: D3F3005C 0D73BD7E
	s_add_u32 s60, 0x200, s80                                  // 000000007134: 803C50FF 00000200
	s_cmp_lt_u32 s60, s81                                      // 00000000713C: BF0A513C
	s_cselect_b32 s57, s57, 0                                  // 000000007140: 85398039
	s_add_u32 s60, 0x200, s80                                  // 000000007144: 803C50FF 00000200
	s_cmp_lt_u32 s60, s81                                      // 00000000714C: BF0A513C
	s_cselect_b32 s58, s58, 0                                  // 000000007150: 853A803A
	s_add_u32 s20, s57, s20                                    // 000000007154: 80141439
	s_addc_u32 s21, 0, s21                                     // 000000007158: 82151580
	s_add_u32 s24, s58, s24                                    // 00000000715C: 8018183A
	s_addc_u32 s25, 0, s25                                     // 000000007160: 82191980
	s_add_u32 s92, s90, s92                                    // 000000007164: 805C5C5A
	s_addc_u32 s93, 0, s93                                     // 000000007168: 825D5D80
	s_addk_i32 s80, 0x100                                      // 00000000716C: B7500100
	s_cmp_lt_i32 s80, s81                                      // 000000007170: BF045150
	s_cbranch_scc0 label_10DF                                  // 000000007174: BF840001
	s_branch label_0DCE                                        // 000000007178: BF82FCEF

000000000000717c <label_10DF>:
	s_mov_b32 s20, 0                                           // 00000000717C: BE940080
	s_cmp_lt_u32 s89, s66                                      // 000000007180: BF0A4259
	s_cselect_b32 s60, 0, 1                                    // 000000007184: 853C8180
	s_lshl1_add_u32 s20, s20, s60                              // 000000007188: 97143C14
	s_cmp_lt_u32 s88, s66                                      // 00000000718C: BF0A4258
	s_cselect_b32 s60, 0, 1                                    // 000000007190: 853C8180
	s_lshl1_add_u32 s20, s20, s60                              // 000000007194: 97143C14
	s_cmp_lt_u32 s87, s66                                      // 000000007198: BF0A4257
	s_cselect_b32 s60, 0, 1                                    // 00000000719C: 853C8180
	s_lshl1_add_u32 s20, s20, s60                              // 0000000071A0: 97143C14
	s_cmp_lt_u32 s86, s66                                      // 0000000071A4: BF0A4256
	s_cselect_b32 s60, 0, 1                                    // 0000000071A8: 853C8180
	s_lshl1_add_u32 s20, s20, s60                              // 0000000071AC: 97143C14
	s_cmp_lt_u32 s85, s66                                      // 0000000071B0: BF0A4255
	s_cselect_b32 s60, 0, 1                                    // 0000000071B4: 853C8180
	s_lshl1_add_u32 s20, s20, s60                              // 0000000071B8: 97143C14
	s_cmp_lt_u32 s84, s66                                      // 0000000071BC: BF0A4254
	s_cselect_b32 s60, 0, 1                                    // 0000000071C0: 853C8180
	s_lshl1_add_u32 s20, s20, s60                              // 0000000071C4: 97143C14
	s_cmp_lt_u32 s83, s66                                      // 0000000071C8: BF0A4253
	s_cselect_b32 s60, 0, 1                                    // 0000000071CC: 853C8180
	s_lshl1_add_u32 s20, s20, s60                              // 0000000071D0: 97143C14
	s_cmp_lt_u32 s82, s66                                      // 0000000071D4: BF0A4252
	s_cselect_b32 s60, 0, 1                                    // 0000000071D8: 853C8180
	s_lshl1_add_u32 s20, s20, s60                              // 0000000071DC: 97143C14
	v_mul_f32_e32 v128, v13, v128                              // 0000000071E0: 0B01010D
	v_mul_f32_e32 v129, v13, v129                              // 0000000071E4: 0B03030D
	v_mul_f32_e32 v130, v13, v130                              // 0000000071E8: 0B05050D
	v_mul_f32_e32 v131, v13, v131                              // 0000000071EC: 0B07070D
	v_mul_f32_dpp v128, v15, v128 row_newbcast:0 row_mask:0xf bank_mask:0xf// 0000000071F0: 0B0100FA FF01500F
	v_mul_f32_dpp v129, v15, v129 row_newbcast:1 row_mask:0xf bank_mask:0xf// 0000000071F8: 0B0302FA FF01510F
	v_mul_f32_dpp v130, v15, v130 row_newbcast:2 row_mask:0xf bank_mask:0xf// 000000007200: 0B0504FA FF01520F
	v_mul_f32_dpp v131, v15, v131 row_newbcast:3 row_mask:0xf bank_mask:0xf// 000000007208: 0B0706FA FF01530F
	v_mul_f32_e32 v132, v14, v132                              // 000000007210: 0B09090E
	v_mul_f32_e32 v133, v14, v133                              // 000000007214: 0B0B0B0E
	v_mul_f32_e32 v134, v14, v134                              // 000000007218: 0B0D0D0E
	v_mul_f32_e32 v135, v14, v135                              // 00000000721C: 0B0F0F0E
	v_mul_f32_dpp v132, v15, v132 row_newbcast:0 row_mask:0xf bank_mask:0xf// 000000007220: 0B0908FA FF01500F
	v_mul_f32_dpp v133, v15, v133 row_newbcast:1 row_mask:0xf bank_mask:0xf// 000000007228: 0B0B0AFA FF01510F
	v_mul_f32_dpp v134, v15, v134 row_newbcast:2 row_mask:0xf bank_mask:0xf// 000000007230: 0B0D0CFA FF01520F
	v_mul_f32_dpp v135, v15, v135 row_newbcast:3 row_mask:0xf bank_mask:0xf// 000000007238: 0B0F0EFA FF01530F
	v_mul_f32_e32 v136, v13, v136                              // 000000007240: 0B11110D
	v_mul_f32_e32 v137, v13, v137                              // 000000007244: 0B13130D
	v_mul_f32_e32 v138, v13, v138                              // 000000007248: 0B15150D
	v_mul_f32_e32 v139, v13, v139                              // 00000000724C: 0B17170D
	v_mul_f32_dpp v136, v15, v136 row_newbcast:4 row_mask:0xf bank_mask:0xf// 000000007250: 0B1110FA FF01540F
	v_mul_f32_dpp v137, v15, v137 row_newbcast:5 row_mask:0xf bank_mask:0xf// 000000007258: 0B1312FA FF01550F
	v_mul_f32_dpp v138, v15, v138 row_newbcast:6 row_mask:0xf bank_mask:0xf// 000000007260: 0B1514FA FF01560F
	v_mul_f32_dpp v139, v15, v139 row_newbcast:7 row_mask:0xf bank_mask:0xf// 000000007268: 0B1716FA FF01570F
	v_mul_f32_e32 v140, v14, v140                              // 000000007270: 0B19190E
	v_mul_f32_e32 v141, v14, v141                              // 000000007274: 0B1B1B0E
	v_mul_f32_e32 v142, v14, v142                              // 000000007278: 0B1D1D0E
	v_mul_f32_e32 v143, v14, v143                              // 00000000727C: 0B1F1F0E
	v_mul_f32_dpp v140, v15, v140 row_newbcast:4 row_mask:0xf bank_mask:0xf// 000000007280: 0B1918FA FF01540F
	v_mul_f32_dpp v141, v15, v141 row_newbcast:5 row_mask:0xf bank_mask:0xf// 000000007288: 0B1B1AFA FF01550F
	v_mul_f32_dpp v142, v15, v142 row_newbcast:6 row_mask:0xf bank_mask:0xf// 000000007290: 0B1D1CFA FF01560F
	v_mul_f32_dpp v143, v15, v143 row_newbcast:7 row_mask:0xf bank_mask:0xf// 000000007298: 0B1F1EFA FF01570F
	v_mul_f32_e32 v144, v13, v144                              // 0000000072A0: 0B21210D
	v_mul_f32_e32 v145, v13, v145                              // 0000000072A4: 0B23230D
	v_mul_f32_e32 v146, v13, v146                              // 0000000072A8: 0B25250D
	v_mul_f32_e32 v147, v13, v147                              // 0000000072AC: 0B27270D
	v_mul_f32_dpp v144, v15, v144 row_newbcast:8 row_mask:0xf bank_mask:0xf// 0000000072B0: 0B2120FA FF01580F
	v_mul_f32_dpp v145, v15, v145 row_newbcast:9 row_mask:0xf bank_mask:0xf// 0000000072B8: 0B2322FA FF01590F
	v_mul_f32_dpp v146, v15, v146 row_newbcast:10 row_mask:0xf bank_mask:0xf// 0000000072C0: 0B2524FA FF015A0F
	v_mul_f32_dpp v147, v15, v147 row_newbcast:11 row_mask:0xf bank_mask:0xf// 0000000072C8: 0B2726FA FF015B0F
	v_mul_f32_e32 v148, v14, v148                              // 0000000072D0: 0B29290E
	v_mul_f32_e32 v149, v14, v149                              // 0000000072D4: 0B2B2B0E
	v_mul_f32_e32 v150, v14, v150                              // 0000000072D8: 0B2D2D0E
	v_mul_f32_e32 v151, v14, v151                              // 0000000072DC: 0B2F2F0E
	v_mul_f32_dpp v148, v15, v148 row_newbcast:8 row_mask:0xf bank_mask:0xf// 0000000072E0: 0B2928FA FF01580F
	v_mul_f32_dpp v149, v15, v149 row_newbcast:9 row_mask:0xf bank_mask:0xf// 0000000072E8: 0B2B2AFA FF01590F
	v_mul_f32_dpp v150, v15, v150 row_newbcast:10 row_mask:0xf bank_mask:0xf// 0000000072F0: 0B2D2CFA FF015A0F
	v_mul_f32_dpp v151, v15, v151 row_newbcast:11 row_mask:0xf bank_mask:0xf// 0000000072F8: 0B2F2EFA FF015B0F
	v_mul_f32_e32 v152, v13, v152                              // 000000007300: 0B31310D
	v_mul_f32_e32 v153, v13, v153                              // 000000007304: 0B33330D
	v_mul_f32_e32 v154, v13, v154                              // 000000007308: 0B35350D
	v_mul_f32_e32 v155, v13, v155                              // 00000000730C: 0B37370D
	v_mul_f32_dpp v152, v15, v152 row_newbcast:12 row_mask:0xf bank_mask:0xf// 000000007310: 0B3130FA FF015C0F
	v_mul_f32_dpp v153, v15, v153 row_newbcast:13 row_mask:0xf bank_mask:0xf// 000000007318: 0B3332FA FF015D0F
	v_mul_f32_dpp v154, v15, v154 row_newbcast:14 row_mask:0xf bank_mask:0xf// 000000007320: 0B3534FA FF015E0F
	v_mul_f32_dpp v155, v15, v155 row_newbcast:15 row_mask:0xf bank_mask:0xf// 000000007328: 0B3736FA FF015F0F
	v_mul_f32_e32 v156, v14, v156                              // 000000007330: 0B39390E
	v_mul_f32_e32 v157, v14, v157                              // 000000007334: 0B3B3B0E
	v_mul_f32_e32 v158, v14, v158                              // 000000007338: 0B3D3D0E
	v_mul_f32_e32 v159, v14, v159                              // 00000000733C: 0B3F3F0E
	v_mul_f32_dpp v156, v15, v156 row_newbcast:12 row_mask:0xf bank_mask:0xf// 000000007340: 0B3938FA FF015C0F
	v_mul_f32_dpp v157, v15, v157 row_newbcast:13 row_mask:0xf bank_mask:0xf// 000000007348: 0B3B3AFA FF015D0F
	v_mul_f32_dpp v158, v15, v158 row_newbcast:14 row_mask:0xf bank_mask:0xf// 000000007350: 0B3D3CFA FF015E0F
	v_mul_f32_dpp v159, v15, v159 row_newbcast:15 row_mask:0xf bank_mask:0xf// 000000007358: 0B3F3EFA FF015F0F
	v_mul_f32_e32 v64, v13, v64                                // 000000007360: 0A80810D
	v_mul_f32_e32 v65, v13, v65                                // 000000007364: 0A82830D
	v_mul_f32_e32 v66, v13, v66                                // 000000007368: 0A84850D
	v_mul_f32_e32 v67, v13, v67                                // 00000000736C: 0A86870D
	v_mul_f32_dpp v64, v44, v64 row_newbcast:0 row_mask:0xf bank_mask:0xf// 000000007370: 0A8080FA FF01502C
	v_mul_f32_dpp v65, v44, v65 row_newbcast:1 row_mask:0xf bank_mask:0xf// 000000007378: 0A8282FA FF01512C
	v_mul_f32_dpp v66, v44, v66 row_newbcast:2 row_mask:0xf bank_mask:0xf// 000000007380: 0A8484FA FF01522C
	v_mul_f32_dpp v67, v44, v67 row_newbcast:3 row_mask:0xf bank_mask:0xf// 000000007388: 0A8686FA FF01532C
	v_mul_f32_e32 v68, v14, v68                                // 000000007390: 0A88890E
	v_mul_f32_e32 v69, v14, v69                                // 000000007394: 0A8A8B0E
	v_mul_f32_e32 v70, v14, v70                                // 000000007398: 0A8C8D0E
	v_mul_f32_e32 v71, v14, v71                                // 00000000739C: 0A8E8F0E
	v_mul_f32_dpp v68, v44, v68 row_newbcast:0 row_mask:0xf bank_mask:0xf// 0000000073A0: 0A8888FA FF01502C
	v_mul_f32_dpp v69, v44, v69 row_newbcast:1 row_mask:0xf bank_mask:0xf// 0000000073A8: 0A8A8AFA FF01512C
	v_mul_f32_dpp v70, v44, v70 row_newbcast:2 row_mask:0xf bank_mask:0xf// 0000000073B0: 0A8C8CFA FF01522C
	v_mul_f32_dpp v71, v44, v71 row_newbcast:3 row_mask:0xf bank_mask:0xf// 0000000073B8: 0A8E8EFA FF01532C
	v_mul_f32_e32 v72, v13, v72                                // 0000000073C0: 0A90910D
	v_mul_f32_e32 v73, v13, v73                                // 0000000073C4: 0A92930D
	v_mul_f32_e32 v74, v13, v74                                // 0000000073C8: 0A94950D
	v_mul_f32_e32 v75, v13, v75                                // 0000000073CC: 0A96970D
	v_mul_f32_dpp v72, v44, v72 row_newbcast:4 row_mask:0xf bank_mask:0xf// 0000000073D0: 0A9090FA FF01542C
	v_mul_f32_dpp v73, v44, v73 row_newbcast:5 row_mask:0xf bank_mask:0xf// 0000000073D8: 0A9292FA FF01552C
	v_mul_f32_dpp v74, v44, v74 row_newbcast:6 row_mask:0xf bank_mask:0xf// 0000000073E0: 0A9494FA FF01562C
	v_mul_f32_dpp v75, v44, v75 row_newbcast:7 row_mask:0xf bank_mask:0xf// 0000000073E8: 0A9696FA FF01572C
	v_mul_f32_e32 v76, v14, v76                                // 0000000073F0: 0A98990E
	v_mul_f32_e32 v77, v14, v77                                // 0000000073F4: 0A9A9B0E
	v_mul_f32_e32 v78, v14, v78                                // 0000000073F8: 0A9C9D0E
	v_mul_f32_e32 v79, v14, v79                                // 0000000073FC: 0A9E9F0E
	v_mul_f32_dpp v76, v44, v76 row_newbcast:4 row_mask:0xf bank_mask:0xf// 000000007400: 0A9898FA FF01542C
	v_mul_f32_dpp v77, v44, v77 row_newbcast:5 row_mask:0xf bank_mask:0xf// 000000007408: 0A9A9AFA FF01552C
	v_mul_f32_dpp v78, v44, v78 row_newbcast:6 row_mask:0xf bank_mask:0xf// 000000007410: 0A9C9CFA FF01562C
	v_mul_f32_dpp v79, v44, v79 row_newbcast:7 row_mask:0xf bank_mask:0xf// 000000007418: 0A9E9EFA FF01572C
	v_mul_f32_e32 v80, v13, v80                                // 000000007420: 0AA0A10D
	v_mul_f32_e32 v81, v13, v81                                // 000000007424: 0AA2A30D
	v_mul_f32_e32 v82, v13, v82                                // 000000007428: 0AA4A50D
	v_mul_f32_e32 v83, v13, v83                                // 00000000742C: 0AA6A70D
	v_mul_f32_dpp v80, v44, v80 row_newbcast:8 row_mask:0xf bank_mask:0xf// 000000007430: 0AA0A0FA FF01582C
	v_mul_f32_dpp v81, v44, v81 row_newbcast:9 row_mask:0xf bank_mask:0xf// 000000007438: 0AA2A2FA FF01592C
	v_mul_f32_dpp v82, v44, v82 row_newbcast:10 row_mask:0xf bank_mask:0xf// 000000007440: 0AA4A4FA FF015A2C
	v_mul_f32_dpp v83, v44, v83 row_newbcast:11 row_mask:0xf bank_mask:0xf// 000000007448: 0AA6A6FA FF015B2C
	v_mul_f32_e32 v84, v14, v84                                // 000000007450: 0AA8A90E
	v_mul_f32_e32 v85, v14, v85                                // 000000007454: 0AAAAB0E
	v_mul_f32_e32 v86, v14, v86                                // 000000007458: 0AACAD0E
	v_mul_f32_e32 v87, v14, v87                                // 00000000745C: 0AAEAF0E
	v_mul_f32_dpp v84, v44, v84 row_newbcast:8 row_mask:0xf bank_mask:0xf// 000000007460: 0AA8A8FA FF01582C
	v_mul_f32_dpp v85, v44, v85 row_newbcast:9 row_mask:0xf bank_mask:0xf// 000000007468: 0AAAAAFA FF01592C
	v_mul_f32_dpp v86, v44, v86 row_newbcast:10 row_mask:0xf bank_mask:0xf// 000000007470: 0AACACFA FF015A2C
	v_mul_f32_dpp v87, v44, v87 row_newbcast:11 row_mask:0xf bank_mask:0xf// 000000007478: 0AAEAEFA FF015B2C
	v_mul_f32_e32 v88, v13, v88                                // 000000007480: 0AB0B10D
	v_mul_f32_e32 v89, v13, v89                                // 000000007484: 0AB2B30D
	v_mul_f32_e32 v90, v13, v90                                // 000000007488: 0AB4B50D
	v_mul_f32_e32 v91, v13, v91                                // 00000000748C: 0AB6B70D
	v_mul_f32_dpp v88, v44, v88 row_newbcast:12 row_mask:0xf bank_mask:0xf// 000000007490: 0AB0B0FA FF015C2C
	v_mul_f32_dpp v89, v44, v89 row_newbcast:13 row_mask:0xf bank_mask:0xf// 000000007498: 0AB2B2FA FF015D2C
	v_mul_f32_dpp v90, v44, v90 row_newbcast:14 row_mask:0xf bank_mask:0xf// 0000000074A0: 0AB4B4FA FF015E2C
	v_mul_f32_dpp v91, v44, v91 row_newbcast:15 row_mask:0xf bank_mask:0xf// 0000000074A8: 0AB6B6FA FF015F2C
	v_mul_f32_e32 v92, v14, v92                                // 0000000074B0: 0AB8B90E
	v_mul_f32_e32 v93, v14, v93                                // 0000000074B4: 0ABABB0E
	v_mul_f32_e32 v94, v14, v94                                // 0000000074B8: 0ABCBD0E
	v_mul_f32_e32 v95, v14, v95                                // 0000000074BC: 0ABEBF0E
	v_mul_f32_dpp v92, v44, v92 row_newbcast:12 row_mask:0xf bank_mask:0xf// 0000000074C0: 0AB8B8FA FF015C2C
	v_mul_f32_dpp v93, v44, v93 row_newbcast:13 row_mask:0xf bank_mask:0xf// 0000000074C8: 0ABABAFA FF015D2C
	v_mul_f32_dpp v94, v44, v94 row_newbcast:14 row_mask:0xf bank_mask:0xf// 0000000074D0: 0ABCBCFA FF015E2C
	v_mul_f32_dpp v95, v44, v95 row_newbcast:15 row_mask:0xf bank_mask:0xf// 0000000074D8: 0ABEBEFA FF015F2C
	s_waitcnt vmcnt(12)                                        // 0000000074E0: BF8C0F7C
	buffer_load_dwordx4 a[0:3], v36, s[12:15], 0 offen         // 0000000074E4: E05C1000 80830024
	v_mul_f32_e64 v46, -v128, s6                               // 0000000074EC: D105002E 20000D80
	v_mul_f32_e64 v47, -v129, s6                               // 0000000074F4: D105002F 20000D81
	v_mul_f32_e64 v48, -v130, s6                               // 0000000074FC: D1050030 20000D82
	v_mul_f32_e64 v49, -v131, s6                               // 000000007504: D1050031 20000D83
	v_exp_f32_e32 v46, v46                                     // 00000000750C: 7E5C412E
	v_exp_f32_e32 v47, v47                                     // 000000007510: 7E5E412F
	v_exp_f32_e32 v48, v48                                     // 000000007514: 7E604130
	v_exp_f32_e32 v49, v49                                     // 000000007518: 7E624131
	buffer_load_dwordx4 a[4:7], v37, s[12:15], 0 offen         // 00000000751C: E05C1000 80830425
	v_add_f32_e64 v46, v46, 1.0                                // 000000007524: D101002E 0001E52E
	v_add_f32_e64 v47, v47, 1.0                                // 00000000752C: D101002F 0001E52F
	v_add_f32_e64 v48, v48, 1.0                                // 000000007534: D1010030 0001E530
	v_add_f32_e64 v49, v49, 1.0                                // 00000000753C: D1010031 0001E531
	v_rcp_f32_e32 v46, v46                                     // 000000007544: 7E5C452E
	v_rcp_f32_e32 v47, v47                                     // 000000007548: 7E5E452F
	v_rcp_f32_e32 v48, v48                                     // 00000000754C: 7E604530
	v_rcp_f32_e32 v49, v49                                     // 000000007550: 7E624531
	v_mul_f32_e32 v128, v128, v46                              // 000000007554: 0B005D80
	v_mul_f32_e32 v129, v129, v47                              // 000000007558: 0B025F81
	v_mul_f32_e32 v130, v130, v48                              // 00000000755C: 0B046182
	v_mul_f32_e32 v131, v131, v49                              // 000000007560: 0B066383
	v_mul_f32_e32 v128, v128, v64                              // 000000007564: 0B008180
	v_mul_f32_e32 v129, v129, v65                              // 000000007568: 0B028381
	v_mul_f32_e32 v130, v130, v66                              // 00000000756C: 0B048582
	v_mul_f32_e32 v131, v131, v67                              // 000000007570: 0B068783
	buffer_load_dwordx4 a[8:11], v38, s[12:15], 0 offen        // 000000007574: E05C1000 80830826
	v_mul_f32_e64 v46, -v132, s6                               // 00000000757C: D105002E 20000D84
	v_mul_f32_e64 v47, -v133, s6                               // 000000007584: D105002F 20000D85
	v_mul_f32_e64 v48, -v134, s6                               // 00000000758C: D1050030 20000D86
	v_mul_f32_e64 v49, -v135, s6                               // 000000007594: D1050031 20000D87
	v_exp_f32_e32 v46, v46                                     // 00000000759C: 7E5C412E
	v_exp_f32_e32 v47, v47                                     // 0000000075A0: 7E5E412F
	v_exp_f32_e32 v48, v48                                     // 0000000075A4: 7E604130
	v_exp_f32_e32 v49, v49                                     // 0000000075A8: 7E624131
	buffer_load_dwordx4 a[12:15], v39, s[12:15], 0 offen       // 0000000075AC: E05C1000 80830C27
	s_add_u32 s12, s78, s12                                    // 0000000075B4: 800C0C4E
	s_addc_u32 s13, 0, s13                                     // 0000000075B8: 820D0D80
	v_add_f32_e64 v46, v46, 1.0                                // 0000000075BC: D101002E 0001E52E
	v_add_f32_e64 v47, v47, 1.0                                // 0000000075C4: D101002F 0001E52F
	v_add_f32_e64 v48, v48, 1.0                                // 0000000075CC: D1010030 0001E530
	v_add_f32_e64 v49, v49, 1.0                                // 0000000075D4: D1010031 0001E531
	v_rcp_f32_e32 v46, v46                                     // 0000000075DC: 7E5C452E
	v_rcp_f32_e32 v47, v47                                     // 0000000075E0: 7E5E452F
	v_rcp_f32_e32 v48, v48                                     // 0000000075E4: 7E604530
	v_rcp_f32_e32 v49, v49                                     // 0000000075E8: 7E624531
	v_mul_f32_e32 v132, v132, v46                              // 0000000075EC: 0B085D84
	v_mul_f32_e32 v133, v133, v47                              // 0000000075F0: 0B0A5F85
	v_mul_f32_e32 v134, v134, v48                              // 0000000075F4: 0B0C6186
	v_mul_f32_e32 v135, v135, v49                              // 0000000075F8: 0B0E6387
	v_mul_f32_e32 v132, v132, v68                              // 0000000075FC: 0B088984
	v_mul_f32_e32 v133, v133, v69                              // 000000007600: 0B0A8B85
	v_mul_f32_e32 v134, v134, v70                              // 000000007604: 0B0C8D86
	v_mul_f32_e32 v135, v135, v71                              // 000000007608: 0B0E8F87
	s_waitcnt vmcnt(12)                                        // 00000000760C: BF8C0F7C
	buffer_load_dwordx4 a[16:19], v36, s[12:15], 0 offen       // 000000007610: E05C1000 80831024
	v_mul_f32_e64 v46, -v136, s6                               // 000000007618: D105002E 20000D88
	v_mul_f32_e64 v47, -v137, s6                               // 000000007620: D105002F 20000D89
	v_mul_f32_e64 v48, -v138, s6                               // 000000007628: D1050030 20000D8A
	v_mul_f32_e64 v49, -v139, s6                               // 000000007630: D1050031 20000D8B
	v_exp_f32_e32 v46, v46                                     // 000000007638: 7E5C412E
	v_exp_f32_e32 v47, v47                                     // 00000000763C: 7E5E412F
	v_exp_f32_e32 v48, v48                                     // 000000007640: 7E604130
	v_exp_f32_e32 v49, v49                                     // 000000007644: 7E624131
	buffer_load_dwordx4 a[20:23], v37, s[12:15], 0 offen       // 000000007648: E05C1000 80831425
	v_add_f32_e64 v46, v46, 1.0                                // 000000007650: D101002E 0001E52E
	v_add_f32_e64 v47, v47, 1.0                                // 000000007658: D101002F 0001E52F
	v_add_f32_e64 v48, v48, 1.0                                // 000000007660: D1010030 0001E530
	v_add_f32_e64 v49, v49, 1.0                                // 000000007668: D1010031 0001E531
	v_rcp_f32_e32 v46, v46                                     // 000000007670: 7E5C452E
	v_rcp_f32_e32 v47, v47                                     // 000000007674: 7E5E452F
	v_rcp_f32_e32 v48, v48                                     // 000000007678: 7E604530
	v_rcp_f32_e32 v49, v49                                     // 00000000767C: 7E624531
	v_mul_f32_e32 v136, v136, v46                              // 000000007680: 0B105D88
	v_mul_f32_e32 v137, v137, v47                              // 000000007684: 0B125F89
	v_mul_f32_e32 v138, v138, v48                              // 000000007688: 0B14618A
	v_mul_f32_e32 v139, v139, v49                              // 00000000768C: 0B16638B
	v_mul_f32_e32 v136, v136, v72                              // 000000007690: 0B109188
	v_mul_f32_e32 v137, v137, v73                              // 000000007694: 0B129389
	v_mul_f32_e32 v138, v138, v74                              // 000000007698: 0B14958A
	v_mul_f32_e32 v139, v139, v75                              // 00000000769C: 0B16978B
	buffer_load_dwordx4 a[24:27], v38, s[12:15], 0 offen       // 0000000076A0: E05C1000 80831826
	v_mul_f32_e64 v46, -v140, s6                               // 0000000076A8: D105002E 20000D8C
	v_mul_f32_e64 v47, -v141, s6                               // 0000000076B0: D105002F 20000D8D
	v_mul_f32_e64 v48, -v142, s6                               // 0000000076B8: D1050030 20000D8E
	v_mul_f32_e64 v49, -v143, s6                               // 0000000076C0: D1050031 20000D8F
	v_exp_f32_e32 v46, v46                                     // 0000000076C8: 7E5C412E
	v_exp_f32_e32 v47, v47                                     // 0000000076CC: 7E5E412F
	v_exp_f32_e32 v48, v48                                     // 0000000076D0: 7E604130
	v_exp_f32_e32 v49, v49                                     // 0000000076D4: 7E624131
	buffer_load_dwordx4 a[28:31], v39, s[12:15], 0 offen       // 0000000076D8: E05C1000 80831C27
	s_add_u32 s12, s78, s12                                    // 0000000076E0: 800C0C4E
	s_addc_u32 s13, 0, s13                                     // 0000000076E4: 820D0D80
	v_add_f32_e64 v46, v46, 1.0                                // 0000000076E8: D101002E 0001E52E
	v_add_f32_e64 v47, v47, 1.0                                // 0000000076F0: D101002F 0001E52F
	v_add_f32_e64 v48, v48, 1.0                                // 0000000076F8: D1010030 0001E530
	v_add_f32_e64 v49, v49, 1.0                                // 000000007700: D1010031 0001E531
	v_rcp_f32_e32 v46, v46                                     // 000000007708: 7E5C452E
	v_rcp_f32_e32 v47, v47                                     // 00000000770C: 7E5E452F
	v_rcp_f32_e32 v48, v48                                     // 000000007710: 7E604530
	v_rcp_f32_e32 v49, v49                                     // 000000007714: 7E624531
	v_mul_f32_e32 v140, v140, v46                              // 000000007718: 0B185D8C
	v_mul_f32_e32 v141, v141, v47                              // 00000000771C: 0B1A5F8D
	v_mul_f32_e32 v142, v142, v48                              // 000000007720: 0B1C618E
	v_mul_f32_e32 v143, v143, v49                              // 000000007724: 0B1E638F
	v_mul_f32_e32 v140, v140, v76                              // 000000007728: 0B18998C
	v_mul_f32_e32 v141, v141, v77                              // 00000000772C: 0B1A9B8D
	v_mul_f32_e32 v142, v142, v78                              // 000000007730: 0B1C9D8E
	v_mul_f32_e32 v143, v143, v79                              // 000000007734: 0B1E9F8F
	s_waitcnt vmcnt(12)                                        // 000000007738: BF8C0F7C
	buffer_load_dwordx4 a[32:35], v36, s[12:15], 0 offen       // 00000000773C: E05C1000 80832024
	v_mul_f32_e64 v46, -v144, s6                               // 000000007744: D105002E 20000D90
	v_mul_f32_e64 v47, -v145, s6                               // 00000000774C: D105002F 20000D91
	v_mul_f32_e64 v48, -v146, s6                               // 000000007754: D1050030 20000D92
	v_mul_f32_e64 v49, -v147, s6                               // 00000000775C: D1050031 20000D93
	v_exp_f32_e32 v46, v46                                     // 000000007764: 7E5C412E
	v_exp_f32_e32 v47, v47                                     // 000000007768: 7E5E412F
	v_exp_f32_e32 v48, v48                                     // 00000000776C: 7E604130
	v_exp_f32_e32 v49, v49                                     // 000000007770: 7E624131
	buffer_load_dwordx4 a[36:39], v37, s[12:15], 0 offen       // 000000007774: E05C1000 80832425
	v_add_f32_e64 v46, v46, 1.0                                // 00000000777C: D101002E 0001E52E
	v_add_f32_e64 v47, v47, 1.0                                // 000000007784: D101002F 0001E52F
	v_add_f32_e64 v48, v48, 1.0                                // 00000000778C: D1010030 0001E530
	v_add_f32_e64 v49, v49, 1.0                                // 000000007794: D1010031 0001E531
	v_rcp_f32_e32 v46, v46                                     // 00000000779C: 7E5C452E
	v_rcp_f32_e32 v47, v47                                     // 0000000077A0: 7E5E452F
	v_rcp_f32_e32 v48, v48                                     // 0000000077A4: 7E604530
	v_rcp_f32_e32 v49, v49                                     // 0000000077A8: 7E624531
	v_mul_f32_e32 v144, v144, v46                              // 0000000077AC: 0B205D90
	v_mul_f32_e32 v145, v145, v47                              // 0000000077B0: 0B225F91
	v_mul_f32_e32 v146, v146, v48                              // 0000000077B4: 0B246192
	v_mul_f32_e32 v147, v147, v49                              // 0000000077B8: 0B266393
	v_mul_f32_e32 v144, v144, v80                              // 0000000077BC: 0B20A190
	v_mul_f32_e32 v145, v145, v81                              // 0000000077C0: 0B22A391
	v_mul_f32_e32 v146, v146, v82                              // 0000000077C4: 0B24A592
	v_mul_f32_e32 v147, v147, v83                              // 0000000077C8: 0B26A793
	buffer_load_dwordx4 a[40:43], v38, s[12:15], 0 offen       // 0000000077CC: E05C1000 80832826
	v_mul_f32_e64 v46, -v148, s6                               // 0000000077D4: D105002E 20000D94
	v_mul_f32_e64 v47, -v149, s6                               // 0000000077DC: D105002F 20000D95
	v_mul_f32_e64 v48, -v150, s6                               // 0000000077E4: D1050030 20000D96
	v_mul_f32_e64 v49, -v151, s6                               // 0000000077EC: D1050031 20000D97
	v_exp_f32_e32 v46, v46                                     // 0000000077F4: 7E5C412E
	v_exp_f32_e32 v47, v47                                     // 0000000077F8: 7E5E412F
	v_exp_f32_e32 v48, v48                                     // 0000000077FC: 7E604130
	v_exp_f32_e32 v49, v49                                     // 000000007800: 7E624131
	buffer_load_dwordx4 a[44:47], v39, s[12:15], 0 offen       // 000000007804: E05C1000 80832C27
	s_add_u32 s12, s78, s12                                    // 00000000780C: 800C0C4E
	s_addc_u32 s13, 0, s13                                     // 000000007810: 820D0D80
	v_add_f32_e64 v46, v46, 1.0                                // 000000007814: D101002E 0001E52E
	v_add_f32_e64 v47, v47, 1.0                                // 00000000781C: D101002F 0001E52F
	v_add_f32_e64 v48, v48, 1.0                                // 000000007824: D1010030 0001E530
	v_add_f32_e64 v49, v49, 1.0                                // 00000000782C: D1010031 0001E531
	v_rcp_f32_e32 v46, v46                                     // 000000007834: 7E5C452E
	v_rcp_f32_e32 v47, v47                                     // 000000007838: 7E5E452F
	v_rcp_f32_e32 v48, v48                                     // 00000000783C: 7E604530
	v_rcp_f32_e32 v49, v49                                     // 000000007840: 7E624531
	v_mul_f32_e32 v148, v148, v46                              // 000000007844: 0B285D94
	v_mul_f32_e32 v149, v149, v47                              // 000000007848: 0B2A5F95
	v_mul_f32_e32 v150, v150, v48                              // 00000000784C: 0B2C6196
	v_mul_f32_e32 v151, v151, v49                              // 000000007850: 0B2E6397
	v_mul_f32_e32 v148, v148, v84                              // 000000007854: 0B28A994
	v_mul_f32_e32 v149, v149, v85                              // 000000007858: 0B2AAB95
	v_mul_f32_e32 v150, v150, v86                              // 00000000785C: 0B2CAD96
	v_mul_f32_e32 v151, v151, v87                              // 000000007860: 0B2EAF97
	s_waitcnt vmcnt(12)                                        // 000000007864: BF8C0F7C
	buffer_load_dwordx4 a[48:51], v36, s[12:15], 0 offen       // 000000007868: E05C1000 80833024
	v_mul_f32_e64 v46, -v152, s6                               // 000000007870: D105002E 20000D98
	v_mul_f32_e64 v47, -v153, s6                               // 000000007878: D105002F 20000D99
	v_mul_f32_e64 v48, -v154, s6                               // 000000007880: D1050030 20000D9A
	v_mul_f32_e64 v49, -v155, s6                               // 000000007888: D1050031 20000D9B
	v_exp_f32_e32 v46, v46                                     // 000000007890: 7E5C412E
	v_exp_f32_e32 v47, v47                                     // 000000007894: 7E5E412F
	v_exp_f32_e32 v48, v48                                     // 000000007898: 7E604130
	v_exp_f32_e32 v49, v49                                     // 00000000789C: 7E624131
	buffer_load_dwordx4 a[52:55], v37, s[12:15], 0 offen       // 0000000078A0: E05C1000 80833425
	v_add_f32_e64 v46, v46, 1.0                                // 0000000078A8: D101002E 0001E52E
	v_add_f32_e64 v47, v47, 1.0                                // 0000000078B0: D101002F 0001E52F
	v_add_f32_e64 v48, v48, 1.0                                // 0000000078B8: D1010030 0001E530
	v_add_f32_e64 v49, v49, 1.0                                // 0000000078C0: D1010031 0001E531
	v_rcp_f32_e32 v46, v46                                     // 0000000078C8: 7E5C452E
	v_rcp_f32_e32 v47, v47                                     // 0000000078CC: 7E5E452F
	v_rcp_f32_e32 v48, v48                                     // 0000000078D0: 7E604530
	v_rcp_f32_e32 v49, v49                                     // 0000000078D4: 7E624531
	v_mul_f32_e32 v152, v152, v46                              // 0000000078D8: 0B305D98
	v_mul_f32_e32 v153, v153, v47                              // 0000000078DC: 0B325F99
	v_mul_f32_e32 v154, v154, v48                              // 0000000078E0: 0B34619A
	v_mul_f32_e32 v155, v155, v49                              // 0000000078E4: 0B36639B
	v_mul_f32_e32 v152, v152, v88                              // 0000000078E8: 0B30B198
	v_mul_f32_e32 v153, v153, v89                              // 0000000078EC: 0B32B399
	v_mul_f32_e32 v154, v154, v90                              // 0000000078F0: 0B34B59A
	v_mul_f32_e32 v155, v155, v91                              // 0000000078F4: 0B36B79B
	buffer_load_dwordx4 a[56:59], v38, s[12:15], 0 offen       // 0000000078F8: E05C1000 80833826
	v_mul_f32_e64 v46, -v156, s6                               // 000000007900: D105002E 20000D9C
	v_mul_f32_e64 v47, -v157, s6                               // 000000007908: D105002F 20000D9D
	v_mul_f32_e64 v48, -v158, s6                               // 000000007910: D1050030 20000D9E
	v_mul_f32_e64 v49, -v159, s6                               // 000000007918: D1050031 20000D9F
	v_exp_f32_e32 v46, v46                                     // 000000007920: 7E5C412E
	v_exp_f32_e32 v47, v47                                     // 000000007924: 7E5E412F
	v_exp_f32_e32 v48, v48                                     // 000000007928: 7E604130
	v_exp_f32_e32 v49, v49                                     // 00000000792C: 7E624131
	buffer_load_dwordx4 a[60:63], v39, s[12:15], 0 offen       // 000000007930: E05C1000 80833C27
	v_add_f32_e64 v46, v46, 1.0                                // 000000007938: D101002E 0001E52E
	v_add_f32_e64 v47, v47, 1.0                                // 000000007940: D101002F 0001E52F
	v_add_f32_e64 v48, v48, 1.0                                // 000000007948: D1010030 0001E530
	v_add_f32_e64 v49, v49, 1.0                                // 000000007950: D1010031 0001E531
	v_rcp_f32_e32 v46, v46                                     // 000000007958: 7E5C452E
	v_rcp_f32_e32 v47, v47                                     // 00000000795C: 7E5E452F
	v_rcp_f32_e32 v48, v48                                     // 000000007960: 7E604530
	v_rcp_f32_e32 v49, v49                                     // 000000007964: 7E624531
	v_mul_f32_e32 v156, v156, v46                              // 000000007968: 0B385D9C
	v_mul_f32_e32 v157, v157, v47                              // 00000000796C: 0B3A5F9D
	v_mul_f32_e32 v158, v158, v48                              // 000000007970: 0B3C619E
	v_mul_f32_e32 v159, v159, v49                              // 000000007974: 0B3E639F
	v_mul_f32_e32 v156, v156, v92                              // 000000007978: 0B38B99C
	v_mul_f32_e32 v157, v157, v93                              // 00000000797C: 0B3ABB9D
	v_mul_f32_e32 v158, v158, v94                              // 000000007980: 0B3CBD9E
	v_mul_f32_e32 v159, v159, v95                              // 000000007984: 0B3EBF9F
	v_lshlrev_b32_e32 v46, 2, v0                               // 000000007988: 245C0082
	s_mul_i32 s60, s82, s71                                    // 00000000798C: 923C4752
	v_add_u32_e64 v80, v46, s60                                // 000000007990: D1340050 0000792E
	v_mov_b32_e32 v81, 0                                       // 000000007998: 7EA20280
	s_mul_i32 s60, s83, s71                                    // 00000000799C: 923C4753
	v_add_u32_e64 v82, v46, s60                                // 0000000079A0: D1340052 0000792E
	v_mov_b32_e32 v83, 0                                       // 0000000079A8: 7EA60280
	s_mul_i32 s60, s84, s71                                    // 0000000079AC: 923C4754
	v_add_u32_e64 v84, v46, s60                                // 0000000079B0: D1340054 0000792E
	v_mov_b32_e32 v85, 0                                       // 0000000079B8: 7EAA0280
	s_mul_i32 s60, s85, s71                                    // 0000000079BC: 923C4755
	v_add_u32_e64 v86, v46, s60                                // 0000000079C0: D1340056 0000792E
	v_mov_b32_e32 v87, 0                                       // 0000000079C8: 7EAE0280
	s_mul_i32 s60, s86, s71                                    // 0000000079CC: 923C4756
	v_add_u32_e64 v88, v46, s60                                // 0000000079D0: D1340058 0000792E
	v_mov_b32_e32 v89, 0                                       // 0000000079D8: 7EB20280
	s_mul_i32 s60, s87, s71                                    // 0000000079DC: 923C4757
	v_add_u32_e64 v90, v46, s60                                // 0000000079E0: D134005A 0000792E
	v_mov_b32_e32 v91, 0                                       // 0000000079E8: 7EB60280
	s_mul_i32 s60, s88, s71                                    // 0000000079EC: 923C4758
	v_add_u32_e64 v92, v46, s60                                // 0000000079F0: D134005C 0000792E
	v_mov_b32_e32 v93, 0                                       // 0000000079F8: 7EBA0280
	s_mul_i32 s60, s89, s71                                    // 0000000079FC: 923C4759
	v_add_u32_e64 v94, v46, s60                                // 000000007A00: D134005E 0000792E
	v_mov_b32_e32 v95, 0                                       // 000000007A08: 7EBE0280
	buffer_load_dword v11, v5, s[16:19], 0 offen               // 000000007A0C: E0501000 80040B05
	v_mov_b32_e32 v20, 0x358637bd                              // 000000007A14: 7E2802FF 358637BD
	v_mov_b32_e32 v21, 0x358637bd                              // 000000007A1C: 7E2A02FF 358637BD
	v_max3_f32 v20, |v128|, |v129|, v20                        // 000000007A24: D1D30314 04530380
	v_max3_f32 v20, |v130|, |v131|, v20                        // 000000007A2C: D1D30314 04530782
	v_max3_f32 v21, |v132|, |v133|, v21                        // 000000007A34: D1D30315 04570B84
	v_max3_f32 v21, |v134|, |v135|, v21                        // 000000007A3C: D1D30315 04570F86
	v_max3_f32 v20, |v136|, |v137|, v20                        // 000000007A44: D1D30314 04531388
	v_max3_f32 v20, |v138|, |v139|, v20                        // 000000007A4C: D1D30314 0453178A
	v_max3_f32 v21, |v140|, |v141|, v21                        // 000000007A54: D1D30315 04571B8C
	v_max3_f32 v21, |v142|, |v143|, v21                        // 000000007A5C: D1D30315 04571F8E
	v_max3_f32 v20, |v144|, |v145|, v20                        // 000000007A64: D1D30314 04532390
	v_max3_f32 v20, |v146|, |v147|, v20                        // 000000007A6C: D1D30314 04532792
	v_max3_f32 v21, |v148|, |v149|, v21                        // 000000007A74: D1D30315 04572B94
	v_max3_f32 v21, |v150|, |v151|, v21                        // 000000007A7C: D1D30315 04572F96
	v_max3_f32 v20, |v152|, |v153|, v20                        // 000000007A84: D1D30314 04533398
	v_max3_f32 v20, |v154|, |v155|, v20                        // 000000007A8C: D1D30314 0453379A
	v_max3_f32 v21, |v156|, |v157|, v21                        // 000000007A94: D1D30315 04573B9C
	v_max3_f32 v21, |v158|, |v159|, v21                        // 000000007A9C: D1D30315 04573F9E
	v_lshlrev_b32_e32 v46, 3, v0                               // 000000007AA4: 245C0083
	s_mul_i32 s60, 0x200, s7                                   // 000000007AA8: 923C07FF 00000200
	v_add_u32_e32 v46, s60, v46                                // 000000007AB0: 685C5C3C
	ds_write_b64 v46, v[20:21] offset:16640                    // 000000007AB4: D89A4100 0000142E
	s_waitcnt lgkmcnt(0)                                       // 000000007ABC: BF8CC07F
	s_barrier                                                  // 000000007AC0: BF8A0000
	v_and_b32_e32 v46, 15, v0                                  // 000000007AC4: 265C008F
	v_lshlrev_b32_e32 v46, 3, v46                              // 000000007AC8: 245C5C83
	ds_read_b64 v[96:97], v46 offset:16640                     // 000000007ACC: D8EC4100 6000002E
	ds_read_b64 v[98:99], v46 offset:16768                     // 000000007AD4: D8EC4180 6200002E
	ds_read_b64 v[100:101], v46 offset:16896                   // 000000007ADC: D8EC4200 6400002E
	ds_read_b64 v[102:103], v46 offset:17024                   // 000000007AE4: D8EC4280 6600002E
	ds_read_b64 v[104:105], v46 offset:17152                   // 000000007AEC: D8EC4300 6800002E
	ds_read_b64 v[106:107], v46 offset:17280                   // 000000007AF4: D8EC4380 6A00002E
	ds_read_b64 v[108:109], v46 offset:17408                   // 000000007AFC: D8EC4400 6C00002E
	ds_read_b64 v[110:111], v46 offset:17536                   // 000000007B04: D8EC4480 6E00002E
	ds_read_b64 v[112:113], v46 offset:17664                   // 000000007B0C: D8EC4500 7000002E
	ds_read_b64 v[114:115], v46 offset:17792                   // 000000007B14: D8EC4580 7200002E
	ds_read_b64 v[116:117], v46 offset:17920                   // 000000007B1C: D8EC4600 7400002E
	ds_read_b64 v[118:119], v46 offset:18048                   // 000000007B24: D8EC4680 7600002E
	ds_read_b64 v[120:121], v46 offset:18176                   // 000000007B2C: D8EC4700 7800002E
	ds_read_b64 v[122:123], v46 offset:18304                   // 000000007B34: D8EC4780 7A00002E
	ds_read_b64 v[124:125], v46 offset:18432                   // 000000007B3C: D8EC4800 7C00002E
	ds_read_b64 v[126:127], v46 offset:18560                   // 000000007B44: D8EC4880 7E00002E
	s_waitcnt lgkmcnt(0)                                       // 000000007B4C: BF8CC07F
	v_max3_f32 v20, |v96|, |v98|, v20                          // 000000007B50: D1D30314 0452C560
	v_max3_f32 v21, |v97|, |v99|, v21                          // 000000007B58: D1D30315 0456C761
	v_max3_f32 v20, |v100|, |v102|, v20                        // 000000007B60: D1D30314 0452CD64
	v_max3_f32 v21, |v101|, |v103|, v21                        // 000000007B68: D1D30315 0456CF65
	v_max3_f32 v20, |v104|, |v106|, v20                        // 000000007B70: D1D30314 0452D568
	v_max3_f32 v21, |v105|, |v107|, v21                        // 000000007B78: D1D30315 0456D769
	v_max3_f32 v20, |v108|, |v110|, v20                        // 000000007B80: D1D30314 0452DD6C
	v_max3_f32 v21, |v109|, |v111|, v21                        // 000000007B88: D1D30315 0456DF6D
	v_max3_f32 v20, |v112|, |v114|, v20                        // 000000007B90: D1D30314 0452E570
	v_max3_f32 v21, |v113|, |v115|, v21                        // 000000007B98: D1D30315 0456E771
	v_max3_f32 v20, |v116|, |v118|, v20                        // 000000007BA0: D1D30314 0452ED74
	v_max3_f32 v21, |v117|, |v119|, v21                        // 000000007BA8: D1D30315 0456EF75
	v_max3_f32 v20, |v120|, |v122|, v20                        // 000000007BB0: D1D30314 0452F578
	v_max3_f32 v21, |v121|, |v123|, v21                        // 000000007BB8: D1D30315 0456F779
	v_max3_f32 v20, |v124|, |v126|, v20                        // 000000007BC0: D1D30314 0452FD7C
	v_max3_f32 v21, |v125|, |v127|, v21                        // 000000007BC8: D1D30315 0456FF7D
	v_rcp_f32_e32 v20, v20                                     // 000000007BD0: 7E284514
	v_rcp_f32_e32 v21, v21                                     // 000000007BD4: 7E2A4515
	v_mov_b32_e32 v46, 0x43700000                              // 000000007BD8: 7E5C02FF 43700000
	v_mul_f32_e32 v20, v46, v20                                // 000000007BE0: 0A28292E
	v_mul_f32_e32 v21, v46, v21                                // 000000007BE4: 0A2A2B2E
	v_mul_f32_e32 v128, v20, v128                              // 000000007BE8: 0B010114
	v_mul_f32_e32 v129, v20, v129                              // 000000007BEC: 0B030314
	v_mul_f32_e32 v130, v20, v130                              // 000000007BF0: 0B050514
	v_mul_f32_e32 v131, v20, v131                              // 000000007BF4: 0B070714
	v_cvt_pk_fp8_f32 v128, v128, v129                          // 000000007BF8: D2A20080 00030380
	v_cvt_pk_fp8_f32 v128, v130, v131 op_sel:[0,0,1]           // 000000007C00: D2A24080 00030782
	v_mul_f32_e32 v132, v21, v132                              // 000000007C08: 0B090915
	v_mul_f32_e32 v133, v21, v133                              // 000000007C0C: 0B0B0B15
	v_mul_f32_e32 v134, v21, v134                              // 000000007C10: 0B0D0D15
	v_mul_f32_e32 v135, v21, v135                              // 000000007C14: 0B0F0F15
	v_cvt_pk_fp8_f32 v129, v132, v133                          // 000000007C18: D2A20081 00030B84
	v_cvt_pk_fp8_f32 v129, v134, v135 op_sel:[0,0,1]           // 000000007C20: D2A24081 00030F86
	v_mul_f32_e32 v136, v20, v136                              // 000000007C28: 0B111114
	v_mul_f32_e32 v137, v20, v137                              // 000000007C2C: 0B131314
	v_mul_f32_e32 v138, v20, v138                              // 000000007C30: 0B151514
	v_mul_f32_e32 v139, v20, v139                              // 000000007C34: 0B171714
	v_cvt_pk_fp8_f32 v130, v136, v137                          // 000000007C38: D2A20082 00031388
	v_cvt_pk_fp8_f32 v130, v138, v139 op_sel:[0,0,1]           // 000000007C40: D2A24082 0003178A
	v_mul_f32_e32 v140, v21, v140                              // 000000007C48: 0B191915
	v_mul_f32_e32 v141, v21, v141                              // 000000007C4C: 0B1B1B15
	v_mul_f32_e32 v142, v21, v142                              // 000000007C50: 0B1D1D15
	v_mul_f32_e32 v143, v21, v143                              // 000000007C54: 0B1F1F15
	v_cvt_pk_fp8_f32 v131, v140, v141                          // 000000007C58: D2A20083 00031B8C
	v_cvt_pk_fp8_f32 v131, v142, v143 op_sel:[0,0,1]           // 000000007C60: D2A24083 00031F8E
	v_mul_f32_e32 v144, v20, v144                              // 000000007C68: 0B212114
	v_mul_f32_e32 v145, v20, v145                              // 000000007C6C: 0B232314
	v_mul_f32_e32 v146, v20, v146                              // 000000007C70: 0B252514
	v_mul_f32_e32 v147, v20, v147                              // 000000007C74: 0B272714
	v_cvt_pk_fp8_f32 v132, v144, v145                          // 000000007C78: D2A20084 00032390
	v_cvt_pk_fp8_f32 v132, v146, v147 op_sel:[0,0,1]           // 000000007C80: D2A24084 00032792
	v_mul_f32_e32 v148, v21, v148                              // 000000007C88: 0B292915
	v_mul_f32_e32 v149, v21, v149                              // 000000007C8C: 0B2B2B15
	v_mul_f32_e32 v150, v21, v150                              // 000000007C90: 0B2D2D15
	v_mul_f32_e32 v151, v21, v151                              // 000000007C94: 0B2F2F15
	v_cvt_pk_fp8_f32 v133, v148, v149                          // 000000007C98: D2A20085 00032B94
	v_cvt_pk_fp8_f32 v133, v150, v151 op_sel:[0,0,1]           // 000000007CA0: D2A24085 00032F96
	v_mul_f32_e32 v152, v20, v152                              // 000000007CA8: 0B313114
	v_mul_f32_e32 v153, v20, v153                              // 000000007CAC: 0B333314
	v_mul_f32_e32 v154, v20, v154                              // 000000007CB0: 0B353514
	v_mul_f32_e32 v155, v20, v155                              // 000000007CB4: 0B373714
	v_cvt_pk_fp8_f32 v134, v152, v153                          // 000000007CB8: D2A20086 00033398
	v_cvt_pk_fp8_f32 v134, v154, v155 op_sel:[0,0,1]           // 000000007CC0: D2A24086 0003379A
	v_mul_f32_e32 v156, v21, v156                              // 000000007CC8: 0B393915
	v_mul_f32_e32 v157, v21, v157                              // 000000007CCC: 0B3B3B15
	v_mul_f32_e32 v158, v21, v158                              // 000000007CD0: 0B3D3D15
	v_mul_f32_e32 v159, v21, v159                              // 000000007CD4: 0B3F3F15
	v_cvt_pk_fp8_f32 v135, v156, v157                          // 000000007CD8: D2A20087 00033B9C
	v_cvt_pk_fp8_f32 v135, v158, v159 op_sel:[0,0,1]           // 000000007CE0: D2A24087 00033F9E
	v_rcp_f32_e32 v22, v20                                     // 000000007CE8: 7E2C4514
	v_rcp_f32_e32 v23, v21                                     // 000000007CEC: 7E2E4515
	v_lshrrev_b32_e32 v46, 5, v0                               // 000000007CF0: 205C0085
	v_lshlrev_b32_e32 v47, 5, v46                              // 000000007CF4: 245E5C85
	v_and_b32_e32 v46, 31, v0                                  // 000000007CF8: 265C009F
	v_lshrrev_b32_e32 v48, 4, v46                              // 000000007CFC: 20605C84
	v_add_u32_e32 v47, v48, v47                                // 000000007D00: 685E5F30
	v_and_b32_e32 v46, 15, v0                                  // 000000007D04: 265C008F
	v_lshlrev_b32_e32 v46, 1, v46                              // 000000007D08: 245C5C81
	v_add_u32_e32 v47, v46, v47                                // 000000007D0C: 685E5F2E
	v_lshlrev_b32_e32 v46, 2, v47                              // 000000007D10: 245C5E82
	s_mul_i32 s60, 0x100, s7                                   // 000000007D14: 923C07FF 00000100
	v_add_u32_e64 v46, v46, s60                                // 000000007D1C: D134002E 0000792E
	ds_write_b32 v46, v128 offset:18688                        // 000000007D24: D81A4900 0000802E
	ds_write_b32 v46, v129 offset:22784                        // 000000007D2C: D81A5900 0000812E
	ds_write_b32 v46, v130 offset:19712                        // 000000007D34: D81A4D00 0000822E
	ds_write_b32 v46, v131 offset:23808                        // 000000007D3C: D81A5D00 0000832E
	ds_write_b32 v46, v132 offset:20736                        // 000000007D44: D81A5100 0000842E
	ds_write_b32 v46, v133 offset:24832                        // 000000007D4C: D81A6100 0000852E
	ds_write_b32 v46, v134 offset:21760                        // 000000007D54: D81A5500 0000862E
	ds_write_b32 v46, v135 offset:25856                        // 000000007D5C: D81A6500 0000872E
	s_waitcnt lgkmcnt(0)                                       // 000000007D64: BF8CC07F
	s_barrier                                                  // 000000007D68: BF8A0000
	v_lshrrev_b32_e32 v46, 4, v0                               // 000000007D6C: 205C0084
	v_lshlrev_b32_e32 v47, 6, v46                              // 000000007D70: 245E5C86
	v_and_b32_e32 v46, 15, v0                                  // 000000007D74: 265C008F
	v_lshlrev_b32_e32 v46, 1, v46                              // 000000007D78: 245C5C81
	v_add_u32_e32 v47, v46, v47                                // 000000007D7C: 685E5F2E
	v_lshlrev_b32_e32 v46, 2, v47                              // 000000007D80: 245C5E82
	ds_read_b64 v[128:129], v46 offset:18688                   // 000000007D84: D8EC4900 8000002E
	ds_read_b64 v[130:131], v46 offset:18816                   // 000000007D8C: D8EC4980 8200002E
	ds_read_b64 v[132:133], v46 offset:19712                   // 000000007D94: D8EC4D00 8400002E
	ds_read_b64 v[134:135], v46 offset:19840                   // 000000007D9C: D8EC4D80 8600002E
	ds_read_b64 v[136:137], v46 offset:20736                   // 000000007DA4: D8EC5100 8800002E
	ds_read_b64 v[138:139], v46 offset:20864                   // 000000007DAC: D8EC5180 8A00002E
	ds_read_b64 v[140:141], v46 offset:21760                   // 000000007DB4: D8EC5500 8C00002E
	ds_read_b64 v[142:143], v46 offset:21888                   // 000000007DBC: D8EC5580 8E00002E
	ds_read_b64 v[144:145], v46 offset:22784                   // 000000007DC4: D8EC5900 9000002E
	ds_read_b64 v[146:147], v46 offset:22912                   // 000000007DCC: D8EC5980 9200002E
	ds_read_b64 v[148:149], v46 offset:23808                   // 000000007DD4: D8EC5D00 9400002E
	ds_read_b64 v[150:151], v46 offset:23936                   // 000000007DDC: D8EC5D80 9600002E
	ds_read_b64 v[152:153], v46 offset:24832                   // 000000007DE4: D8EC6100 9800002E
	ds_read_b64 v[154:155], v46 offset:24960                   // 000000007DEC: D8EC6180 9A00002E
	ds_read_b64 v[156:157], v46 offset:25856                   // 000000007DF4: D8EC6500 9C00002E
	ds_read_b64 v[158:159], v46 offset:25984                   // 000000007DFC: D8EC6580 9E00002E
	s_add_u32 s12, s56, s12                                    // 000000007E04: 800C0C38
	s_addc_u32 s13, 0, s13                                     // 000000007E08: 820D0D80
	s_add_u32 s16, s79, s16                                    // 000000007E0C: 8010104F
	s_addc_u32 s17, 0, s17                                     // 000000007E10: 82111180
	s_waitcnt lgkmcnt(0)                                       // 000000007E14: BF8CC07F
	s_barrier                                                  // 000000007E18: BF8A0000
	v_mov_b32_e32 v160, 0                                      // 000000007E1C: 7F400280
	v_mov_b32_e32 v192, 0                                      // 000000007E20: 7F800280
	v_mov_b32_e32 v161, 0                                      // 000000007E24: 7F420280
	v_mov_b32_e32 v193, 0                                      // 000000007E28: 7F820280
	v_mov_b32_e32 v162, 0                                      // 000000007E2C: 7F440280
	v_mov_b32_e32 v194, 0                                      // 000000007E30: 7F840280
	v_mov_b32_e32 v163, 0                                      // 000000007E34: 7F460280
	v_mov_b32_e32 v195, 0                                      // 000000007E38: 7F860280
	v_mov_b32_e32 v164, 0                                      // 000000007E3C: 7F480280
	v_mov_b32_e32 v196, 0                                      // 000000007E40: 7F880280
	v_mov_b32_e32 v165, 0                                      // 000000007E44: 7F4A0280
	v_mov_b32_e32 v197, 0                                      // 000000007E48: 7F8A0280
	v_mov_b32_e32 v166, 0                                      // 000000007E4C: 7F4C0280
	v_mov_b32_e32 v198, 0                                      // 000000007E50: 7F8C0280
	v_mov_b32_e32 v167, 0                                      // 000000007E54: 7F4E0280
	v_mov_b32_e32 v199, 0                                      // 000000007E58: 7F8E0280
	v_mov_b32_e32 v168, 0                                      // 000000007E5C: 7F500280
	v_mov_b32_e32 v200, 0                                      // 000000007E60: 7F900280
	v_mov_b32_e32 v169, 0                                      // 000000007E64: 7F520280
	v_mov_b32_e32 v201, 0                                      // 000000007E68: 7F920280
	v_mov_b32_e32 v170, 0                                      // 000000007E6C: 7F540280
	v_mov_b32_e32 v202, 0                                      // 000000007E70: 7F940280
	v_mov_b32_e32 v171, 0                                      // 000000007E74: 7F560280
	v_mov_b32_e32 v203, 0                                      // 000000007E78: 7F960280
	v_mov_b32_e32 v172, 0                                      // 000000007E7C: 7F580280
	v_mov_b32_e32 v204, 0                                      // 000000007E80: 7F980280
	v_mov_b32_e32 v173, 0                                      // 000000007E84: 7F5A0280
	v_mov_b32_e32 v205, 0                                      // 000000007E88: 7F9A0280
	v_mov_b32_e32 v174, 0                                      // 000000007E8C: 7F5C0280
	v_mov_b32_e32 v206, 0                                      // 000000007E90: 7F9C0280
	v_mov_b32_e32 v175, 0                                      // 000000007E94: 7F5E0280
	v_mov_b32_e32 v207, 0                                      // 000000007E98: 7F9E0280
	ds_write_b64 v3, v[160:161] offset:18688                   // 000000007E9C: D89A4900 0000A003
	ds_write_b64 v3, v[162:163] offset:27392                   // 000000007EA4: D89A6B00 0000A203
	ds_write_b64 v3, v[164:165] offset:20864                   // 000000007EAC: D89A5180 0000A403
	ds_write_b64 v3, v[166:167] offset:29568                   // 000000007EB4: D89A7380 0000A603
	ds_write_b64 v3, v[168:169] offset:23040                   // 000000007EBC: D89A5A00 0000A803
	ds_write_b64 v3, v[170:171] offset:31744                   // 000000007EC4: D89A7C00 0000AA03
	ds_write_b64 v3, v[172:173] offset:25216                   // 000000007ECC: D89A6280 0000AC03
	ds_write_b64 v3, v[174:175] offset:33920                   // 000000007ED4: D89A8480 0000AE03
	s_mov_b32 s80, 0                                           // 000000007EDC: BED00080
	s_waitcnt vmcnt(0) expcnt(0) lgkmcnt(0)                    // 000000007EE0: BF8C0000

0000000000007ee4 <label_1439>:
	s_waitcnt vmcnt(13) lgkmcnt(0)                             // 000000007EE4: BF8C007D
	s_barrier                                                  // 000000007EE8: BF8A0000
	v_mfma_f32_16x16x32_fp8_fp8 v[160:163], a[0:1], v[128:129], 0// 000000007EEC: D3F300A0 0A030100
	buffer_load_dwordx4 a[64:67], v36, s[12:15], 0 offen       // 000000007EF4: E05C1000 80834024
	v_mfma_f32_16x16x32_fp8_fp8 v[160:163], a[2:3], v[130:131], v[160:163]// 000000007EFC: D3F300A0 0E830502
	ds_read_b32 v64, v4 offset:18688                           // 000000007F04: D86C4900 40000004
	ds_read_b32 v65, v4 offset:23040                           // 000000007F0C: D86C5A00 41000004
	v_mfma_f32_16x16x32_fp8_fp8 v[164:167], a[0:1], v[144:145], 0// 000000007F14: D3F300A4 0A032100
	v_mfma_f32_16x16x32_fp8_fp8 v[164:167], a[2:3], v[146:147], v[164:167]// 000000007F1C: D3F300A4 0E932502
	ds_read_b32 v66, v4 offset:18720                           // 000000007F24: D86C4920 42000004
	ds_read_b32 v67, v4 offset:23072                           // 000000007F2C: D86C5A20 43000004
	v_mfma_f32_16x16x32_fp8_fp8 v[168:171], a[4:5], v[128:129], 0// 000000007F34: D3F300A8 0A030104
	buffer_load_dwordx4 a[68:71], v37, s[12:15], 0 offen       // 000000007F3C: E05C1000 80834425
	v_mfma_f32_16x16x32_fp8_fp8 v[168:171], a[6:7], v[130:131], v[168:171]// 000000007F44: D3F300A8 0EA30506
	ds_read_b32 v68, v4 offset:18752                           // 000000007F4C: D86C4940 44000004
	ds_read_b32 v69, v4 offset:23104                           // 000000007F54: D86C5A40 45000004
	v_mfma_f32_16x16x32_fp8_fp8 v[172:175], a[4:5], v[144:145], 0// 000000007F5C: D3F300AC 0A032104
	v_mfma_f32_16x16x32_fp8_fp8 v[172:175], a[6:7], v[146:147], v[172:175]// 000000007F64: D3F300AC 0EB32506
	ds_read_b32 v70, v4 offset:18784                           // 000000007F6C: D86C4960 46000004
	ds_read_b32 v71, v4 offset:23136                           // 000000007F74: D86C5A60 47000004
	v_mfma_f32_16x16x32_fp8_fp8 v[176:179], a[8:9], v[128:129], 0// 000000007F7C: D3F300B0 0A030108
	buffer_load_dwordx4 a[72:75], v38, s[12:15], 0 offen       // 000000007F84: E05C1000 80834826
	v_mfma_f32_16x16x32_fp8_fp8 v[176:179], a[10:11], v[130:131], v[176:179]// 000000007F8C: D3F300B0 0EC3050A
	ds_read_b32 v72, v4 offset:27392                           // 000000007F94: D86C6B00 48000004
	ds_read_b32 v73, v4 offset:31744                           // 000000007F9C: D86C7C00 49000004
	v_mfma_f32_16x16x32_fp8_fp8 v[180:183], a[8:9], v[144:145], 0// 000000007FA4: D3F300B4 0A032108
	v_mfma_f32_16x16x32_fp8_fp8 v[180:183], a[10:11], v[146:147], v[180:183]// 000000007FAC: D3F300B4 0ED3250A
	ds_read_b32 v74, v4 offset:27424                           // 000000007FB4: D86C6B20 4A000004
	ds_read_b32 v75, v4 offset:31776                           // 000000007FBC: D86C7C20 4B000004
	v_mfma_f32_16x16x32_fp8_fp8 v[184:187], a[12:13], v[128:129], 0// 000000007FC4: D3F300B8 0A03010C
	buffer_load_dwordx4 a[76:79], v39, s[12:15], 0 offen       // 000000007FCC: E05C1000 80834C27
	s_add_u32 s12, s78, s12                                    // 000000007FD4: 800C0C4E
	s_addc_u32 s13, 0, s13                                     // 000000007FD8: 820D0D80
	v_mfma_f32_16x16x32_fp8_fp8 v[184:187], a[14:15], v[130:131], v[184:187]// 000000007FDC: D3F300B8 0EE3050E
	ds_read_b32 v76, v4 offset:27456                           // 000000007FE4: D86C6B40 4C000004
	ds_read_b32 v77, v4 offset:31808                           // 000000007FEC: D86C7C40 4D000004
	v_mfma_f32_16x16x32_fp8_fp8 v[188:191], a[12:13], v[144:145], 0// 000000007FF4: D3F300BC 0A03210C
	v_mfma_f32_16x16x32_fp8_fp8 v[188:191], a[14:15], v[146:147], v[188:191]// 000000007FFC: D3F300BC 0EF3250E
	ds_read_b32 v78, v4 offset:27488                           // 000000008004: D86C6B60 4E000004
	ds_read_b32 v79, v4 offset:31840                           // 00000000800C: D86C7C60 4F000004
	s_waitcnt vmcnt(13)                                        // 000000008014: BF8C0F7D
	v_mfma_f32_16x16x32_fp8_fp8 v[160:163], a[16:17], v[132:133], v[160:163]// 000000008018: D3F300A0 0E830910
	buffer_load_dwordx4 a[80:83], v36, s[12:15], 0 offen       // 000000008020: E05C1000 80835024
	v_mfma_f32_16x16x32_fp8_fp8 v[160:163], a[18:19], v[134:135], v[160:163]// 000000008028: D3F300A0 0E830D12
	v_mfma_f32_16x16x32_fp8_fp8 v[164:167], a[16:17], v[148:149], v[164:167]// 000000008030: D3F300A4 0E932910
	v_mfma_f32_16x16x32_fp8_fp8 v[164:167], a[18:19], v[150:151], v[164:167]// 000000008038: D3F300A4 0E932D12
	v_mfma_f32_16x16x32_fp8_fp8 v[168:171], a[20:21], v[132:133], v[168:171]// 000000008040: D3F300A8 0EA30914
	buffer_load_dwordx4 a[84:87], v37, s[12:15], 0 offen       // 000000008048: E05C1000 80835425
	v_mfma_f32_16x16x32_fp8_fp8 v[168:171], a[22:23], v[134:135], v[168:171]// 000000008050: D3F300A8 0EA30D16
	v_mfma_f32_16x16x32_fp8_fp8 v[172:175], a[20:21], v[148:149], v[172:175]// 000000008058: D3F300AC 0EB32914
	v_mfma_f32_16x16x32_fp8_fp8 v[172:175], a[22:23], v[150:151], v[172:175]// 000000008060: D3F300AC 0EB32D16
	v_mfma_f32_16x16x32_fp8_fp8 v[176:179], a[24:25], v[132:133], v[176:179]// 000000008068: D3F300B0 0EC30918
	buffer_load_dwordx4 a[88:91], v38, s[12:15], 0 offen       // 000000008070: E05C1000 80835826
	v_mfma_f32_16x16x32_fp8_fp8 v[176:179], a[26:27], v[134:135], v[176:179]// 000000008078: D3F300B0 0EC30D1A
	v_mfma_f32_16x16x32_fp8_fp8 v[180:183], a[24:25], v[148:149], v[180:183]// 000000008080: D3F300B4 0ED32918
	v_mfma_f32_16x16x32_fp8_fp8 v[180:183], a[26:27], v[150:151], v[180:183]// 000000008088: D3F300B4 0ED32D1A
	v_mfma_f32_16x16x32_fp8_fp8 v[184:187], a[28:29], v[132:133], v[184:187]// 000000008090: D3F300B8 0EE3091C
	buffer_load_dwordx4 a[92:95], v39, s[12:15], 0 offen       // 000000008098: E05C1000 80835C27
	s_add_u32 s12, s78, s12                                    // 0000000080A0: 800C0C4E
	s_addc_u32 s13, 0, s13                                     // 0000000080A4: 820D0D80
	v_mfma_f32_16x16x32_fp8_fp8 v[184:187], a[30:31], v[134:135], v[184:187]// 0000000080A8: D3F300B8 0EE30D1E
	v_mfma_f32_16x16x32_fp8_fp8 v[188:191], a[28:29], v[148:149], v[188:191]// 0000000080B0: D3F300BC 0EF3291C
	v_mfma_f32_16x16x32_fp8_fp8 v[188:191], a[30:31], v[150:151], v[188:191]// 0000000080B8: D3F300BC 0EF32D1E
	s_waitcnt vmcnt(13)                                        // 0000000080C0: BF8C0F7D
	v_mfma_f32_16x16x32_fp8_fp8 v[160:163], a[32:33], v[136:137], v[160:163]// 0000000080C4: D3F300A0 0E831120
	buffer_load_dwordx4 a[96:99], v36, s[12:15], 0 offen       // 0000000080CC: E05C1000 80836024
	v_mfma_f32_16x16x32_fp8_fp8 v[160:163], a[34:35], v[138:139], v[160:163]// 0000000080D4: D3F300A0 0E831522
	ds_write_b64 v3, v[192:193] offset:36096                   // 0000000080DC: D89A8D00 0000C003
	v_mfma_f32_16x16x32_fp8_fp8 v[164:167], a[32:33], v[152:153], v[164:167]// 0000000080E4: D3F300A4 0E933120
	v_mfma_f32_16x16x32_fp8_fp8 v[164:167], a[34:35], v[154:155], v[164:167]// 0000000080EC: D3F300A4 0E933522
	ds_write_b64 v3, v[194:195] offset:44800                   // 0000000080F4: D89AAF00 0000C203
	v_mfma_f32_16x16x32_fp8_fp8 v[168:171], a[36:37], v[136:137], v[168:171]// 0000000080FC: D3F300A8 0EA31124
	buffer_load_dwordx4 a[100:103], v37, s[12:15], 0 offen     // 000000008104: E05C1000 80836425
	v_mfma_f32_16x16x32_fp8_fp8 v[168:171], a[38:39], v[138:139], v[168:171]// 00000000810C: D3F300A8 0EA31526
	ds_write_b64 v3, v[196:197] offset:38272                   // 000000008114: D89A9580 0000C403
	v_mfma_f32_16x16x32_fp8_fp8 v[172:175], a[36:37], v[152:153], v[172:175]// 00000000811C: D3F300AC 0EB33124
	v_mfma_f32_16x16x32_fp8_fp8 v[172:175], a[38:39], v[154:155], v[172:175]// 000000008124: D3F300AC 0EB33526
	ds_write_b64 v3, v[198:199] offset:46976                   // 00000000812C: D89AB780 0000C603
	v_mfma_f32_16x16x32_fp8_fp8 v[176:179], a[40:41], v[136:137], v[176:179]// 000000008134: D3F300B0 0EC31128
	buffer_load_dwordx4 a[104:107], v38, s[12:15], 0 offen     // 00000000813C: E05C1000 80836826
	v_mfma_f32_16x16x32_fp8_fp8 v[176:179], a[42:43], v[138:139], v[176:179]// 000000008144: D3F300B0 0EC3152A
	ds_write_b64 v3, v[200:201] offset:40448                   // 00000000814C: D89A9E00 0000C803
	v_mfma_f32_16x16x32_fp8_fp8 v[180:183], a[40:41], v[152:153], v[180:183]// 000000008154: D3F300B4 0ED33128
	v_mfma_f32_16x16x32_fp8_fp8 v[180:183], a[42:43], v[154:155], v[180:183]// 00000000815C: D3F300B4 0ED3352A
	ds_write_b64 v3, v[202:203] offset:49152                   // 000000008164: D89AC000 0000CA03
	v_mfma_f32_16x16x32_fp8_fp8 v[184:187], a[44:45], v[136:137], v[184:187]// 00000000816C: D3F300B8 0EE3112C
	buffer_load_dwordx4 a[108:111], v39, s[12:15], 0 offen     // 000000008174: E05C1000 80836C27
	s_add_u32 s12, s78, s12                                    // 00000000817C: 800C0C4E
	s_addc_u32 s13, 0, s13                                     // 000000008180: 820D0D80
	v_mfma_f32_16x16x32_fp8_fp8 v[184:187], a[46:47], v[138:139], v[184:187]// 000000008184: D3F300B8 0EE3152E
	ds_write_b64 v3, v[204:205] offset:42624                   // 00000000818C: D89AA680 0000CC03
	v_mfma_f32_16x16x32_fp8_fp8 v[188:191], a[44:45], v[152:153], v[188:191]// 000000008194: D3F300BC 0EF3312C
	v_mfma_f32_16x16x32_fp8_fp8 v[188:191], a[46:47], v[154:155], v[188:191]// 00000000819C: D3F300BC 0EF3352E
	ds_write_b64 v3, v[206:207] offset:51328                   // 0000000081A4: D89AC880 0000CE03
	s_waitcnt vmcnt(12)                                        // 0000000081AC: BF8C0F7C
	v_mfma_f32_16x16x32_fp8_fp8 v[160:163], a[48:49], v[140:141], v[160:163]// 0000000081B0: D3F300A0 0E831930
	buffer_load_dwordx4 a[112:115], v36, s[12:15], 0 offen     // 0000000081B8: E05C1000 80837024
	v_mfma_f32_16x16x32_fp8_fp8 v[160:163], a[50:51], v[142:143], v[160:163]// 0000000081C0: D3F300A0 0E831D32
	v_mfma_f32_16x16x32_fp8_fp8 v[164:167], a[48:49], v[156:157], v[164:167]// 0000000081C8: D3F300A4 0E933930
	buffer_load_dword v12, v5, s[16:19], 0 offen               // 0000000081D0: E0501000 80040C05
	v_mfma_f32_16x16x32_fp8_fp8 v[164:167], a[50:51], v[158:159], v[164:167]// 0000000081D8: D3F300A4 0E933D32
	v_mfma_f32_16x16x32_fp8_fp8 v[168:171], a[52:53], v[140:141], v[168:171]// 0000000081E0: D3F300A8 0EA31934
	buffer_load_dwordx4 a[116:119], v37, s[12:15], 0 offen     // 0000000081E8: E05C1000 80837425
	v_mfma_f32_16x16x32_fp8_fp8 v[168:171], a[54:55], v[142:143], v[168:171]// 0000000081F0: D3F300A8 0EA31D36
	v_mfma_f32_16x16x32_fp8_fp8 v[172:175], a[52:53], v[156:157], v[172:175]// 0000000081F8: D3F300AC 0EB33934
	v_mfma_f32_16x16x32_fp8_fp8 v[172:175], a[54:55], v[158:159], v[172:175]// 000000008200: D3F300AC 0EB33D36
	v_mfma_f32_16x16x32_fp8_fp8 v[176:179], a[56:57], v[140:141], v[176:179]// 000000008208: D3F300B0 0EC31938
	buffer_load_dwordx4 a[120:123], v38, s[12:15], 0 offen     // 000000008210: E05C1000 80837826
	v_mfma_f32_16x16x32_fp8_fp8 v[176:179], a[58:59], v[142:143], v[176:179]// 000000008218: D3F300B0 0EC31D3A
	v_mfma_f32_16x16x32_fp8_fp8 v[180:183], a[56:57], v[156:157], v[180:183]// 000000008220: D3F300B4 0ED33938
	v_mfma_f32_16x16x32_fp8_fp8 v[180:183], a[58:59], v[158:159], v[180:183]// 000000008228: D3F300B4 0ED33D3A
	v_mfma_f32_16x16x32_fp8_fp8 v[184:187], a[60:61], v[140:141], v[184:187]// 000000008230: D3F300B8 0EE3193C
	buffer_load_dwordx4 a[124:127], v39, s[12:15], 0 offen     // 000000008238: E05C1000 80837C27
	v_mfma_f32_16x16x32_fp8_fp8 v[184:187], a[62:63], v[142:143], v[184:187]// 000000008240: D3F300B8 0EE31D3E
	v_mfma_f32_16x16x32_fp8_fp8 v[188:191], a[60:61], v[156:157], v[188:191]// 000000008248: D3F300BC 0EF3393C
	v_mfma_f32_16x16x32_fp8_fp8 v[188:191], a[62:63], v[158:159], v[188:191]// 000000008250: D3F300BC 0EF33D3E
	s_add_u32 s60, 0x200, s80                                  // 000000008258: 803C50FF 00000200
	s_cmp_lt_u32 s60, s81                                      // 000000008260: BF0A513C
	s_cselect_b32 s56, s56, 0                                  // 000000008264: 85388038
	s_cselect_b32 s78, s78, 0                                  // 000000008268: 854E804E
	s_cselect_b32 s79, s79, 0                                  // 00000000826C: 854F804F
	s_add_u32 s12, s56, s12                                    // 000000008270: 800C0C38
	s_addc_u32 s13, 0, s13                                     // 000000008274: 820D0D80
	s_add_u32 s16, s79, s16                                    // 000000008278: 8010104F
	s_addc_u32 s17, 0, s17                                     // 00000000827C: 82111180
	v_mul_f32_e32 v160, v22, v160                              // 000000008280: 0B414116
	v_mul_f32_e32 v161, v22, v161                              // 000000008284: 0B434316
	v_mul_f32_e32 v162, v22, v162                              // 000000008288: 0B454516
	v_mul_f32_e32 v163, v22, v163                              // 00000000828C: 0B474716
	v_mul_f32_dpp v160, v11, v160 row_newbcast:0 row_mask:0xf bank_mask:0xf// 000000008290: 0B4140FA FF01500B
	v_mul_f32_dpp v161, v11, v161 row_newbcast:1 row_mask:0xf bank_mask:0xf// 000000008298: 0B4342FA FF01510B
	v_mul_f32_dpp v162, v11, v162 row_newbcast:2 row_mask:0xf bank_mask:0xf// 0000000082A0: 0B4544FA FF01520B
	v_mul_f32_dpp v163, v11, v163 row_newbcast:3 row_mask:0xf bank_mask:0xf// 0000000082A8: 0B4746FA FF01530B
	v_mul_f32_e32 v160, v17, v160                              // 0000000082B0: 0B414111
	v_mul_f32_e32 v161, v17, v161                              // 0000000082B4: 0B434311
	v_mul_f32_e32 v162, v17, v162                              // 0000000082B8: 0B454511
	v_mul_f32_e32 v163, v17, v163                              // 0000000082BC: 0B474711
	v_mul_f32_e32 v164, v23, v164                              // 0000000082C0: 0B494917
	v_mul_f32_e32 v165, v23, v165                              // 0000000082C4: 0B4B4B17
	v_mul_f32_e32 v166, v23, v166                              // 0000000082C8: 0B4D4D17
	v_mul_f32_e32 v167, v23, v167                              // 0000000082CC: 0B4F4F17
	v_mul_f32_dpp v164, v11, v164 row_newbcast:0 row_mask:0xf bank_mask:0xf// 0000000082D0: 0B4948FA FF01500B
	v_mul_f32_dpp v165, v11, v165 row_newbcast:1 row_mask:0xf bank_mask:0xf// 0000000082D8: 0B4B4AFA FF01510B
	v_mul_f32_dpp v166, v11, v166 row_newbcast:2 row_mask:0xf bank_mask:0xf// 0000000082E0: 0B4D4CFA FF01520B
	v_mul_f32_dpp v167, v11, v167 row_newbcast:3 row_mask:0xf bank_mask:0xf// 0000000082E8: 0B4F4EFA FF01530B
	v_mul_f32_e32 v164, v18, v164                              // 0000000082F0: 0B494912
	v_mul_f32_e32 v165, v18, v165                              // 0000000082F4: 0B4B4B12
	v_mul_f32_e32 v166, v18, v166                              // 0000000082F8: 0B4D4D12
	v_mul_f32_e32 v167, v18, v167                              // 0000000082FC: 0B4F4F12
	v_mul_f32_e32 v168, v22, v168                              // 000000008300: 0B515116
	v_mul_f32_e32 v169, v22, v169                              // 000000008304: 0B535316
	v_mul_f32_e32 v170, v22, v170                              // 000000008308: 0B555516
	v_mul_f32_e32 v171, v22, v171                              // 00000000830C: 0B575716
	v_mul_f32_dpp v168, v11, v168 row_newbcast:4 row_mask:0xf bank_mask:0xf// 000000008310: 0B5150FA FF01540B
	v_mul_f32_dpp v169, v11, v169 row_newbcast:5 row_mask:0xf bank_mask:0xf// 000000008318: 0B5352FA FF01550B
	v_mul_f32_dpp v170, v11, v170 row_newbcast:6 row_mask:0xf bank_mask:0xf// 000000008320: 0B5554FA FF01560B
	v_mul_f32_dpp v171, v11, v171 row_newbcast:7 row_mask:0xf bank_mask:0xf// 000000008328: 0B5756FA FF01570B
	v_mul_f32_e32 v168, v17, v168                              // 000000008330: 0B515111
	v_mul_f32_e32 v169, v17, v169                              // 000000008334: 0B535311
	v_mul_f32_e32 v170, v17, v170                              // 000000008338: 0B555511
	v_mul_f32_e32 v171, v17, v171                              // 00000000833C: 0B575711
	v_mul_f32_e32 v172, v23, v172                              // 000000008340: 0B595917
	v_mul_f32_e32 v173, v23, v173                              // 000000008344: 0B5B5B17
	v_mul_f32_e32 v174, v23, v174                              // 000000008348: 0B5D5D17
	v_mul_f32_e32 v175, v23, v175                              // 00000000834C: 0B5F5F17
	v_mul_f32_dpp v172, v11, v172 row_newbcast:4 row_mask:0xf bank_mask:0xf// 000000008350: 0B5958FA FF01540B
	v_mul_f32_dpp v173, v11, v173 row_newbcast:5 row_mask:0xf bank_mask:0xf// 000000008358: 0B5B5AFA FF01550B
	v_mul_f32_dpp v174, v11, v174 row_newbcast:6 row_mask:0xf bank_mask:0xf// 000000008360: 0B5D5CFA FF01560B
	v_mul_f32_dpp v175, v11, v175 row_newbcast:7 row_mask:0xf bank_mask:0xf// 000000008368: 0B5F5EFA FF01570B
	v_mul_f32_e32 v172, v18, v172                              // 000000008370: 0B595912
	v_mul_f32_e32 v173, v18, v173                              // 000000008374: 0B5B5B12
	v_mul_f32_e32 v174, v18, v174                              // 000000008378: 0B5D5D12
	v_mul_f32_e32 v175, v18, v175                              // 00000000837C: 0B5F5F12
	v_mul_f32_e32 v176, v22, v176                              // 000000008380: 0B616116
	v_mul_f32_e32 v177, v22, v177                              // 000000008384: 0B636316
	v_mul_f32_e32 v178, v22, v178                              // 000000008388: 0B656516
	v_mul_f32_e32 v179, v22, v179                              // 00000000838C: 0B676716
	v_mul_f32_dpp v176, v11, v176 row_newbcast:8 row_mask:0xf bank_mask:0xf// 000000008390: 0B6160FA FF01580B
	v_mul_f32_dpp v177, v11, v177 row_newbcast:9 row_mask:0xf bank_mask:0xf// 000000008398: 0B6362FA FF01590B
	v_mul_f32_dpp v178, v11, v178 row_newbcast:10 row_mask:0xf bank_mask:0xf// 0000000083A0: 0B6564FA FF015A0B
	v_mul_f32_dpp v179, v11, v179 row_newbcast:11 row_mask:0xf bank_mask:0xf// 0000000083A8: 0B6766FA FF015B0B
	v_mul_f32_e32 v176, v17, v176                              // 0000000083B0: 0B616111
	v_mul_f32_e32 v177, v17, v177                              // 0000000083B4: 0B636311
	v_mul_f32_e32 v178, v17, v178                              // 0000000083B8: 0B656511
	v_mul_f32_e32 v179, v17, v179                              // 0000000083BC: 0B676711
	v_mul_f32_e32 v180, v23, v180                              // 0000000083C0: 0B696917
	v_mul_f32_e32 v181, v23, v181                              // 0000000083C4: 0B6B6B17
	v_mul_f32_e32 v182, v23, v182                              // 0000000083C8: 0B6D6D17
	v_mul_f32_e32 v183, v23, v183                              // 0000000083CC: 0B6F6F17
	v_mul_f32_dpp v180, v11, v180 row_newbcast:8 row_mask:0xf bank_mask:0xf// 0000000083D0: 0B6968FA FF01580B
	v_mul_f32_dpp v181, v11, v181 row_newbcast:9 row_mask:0xf bank_mask:0xf// 0000000083D8: 0B6B6AFA FF01590B
	v_mul_f32_dpp v182, v11, v182 row_newbcast:10 row_mask:0xf bank_mask:0xf// 0000000083E0: 0B6D6CFA FF015A0B
	v_mul_f32_dpp v183, v11, v183 row_newbcast:11 row_mask:0xf bank_mask:0xf// 0000000083E8: 0B6F6EFA FF015B0B
	v_mul_f32_e32 v180, v18, v180                              // 0000000083F0: 0B696912
	v_mul_f32_e32 v181, v18, v181                              // 0000000083F4: 0B6B6B12
	v_mul_f32_e32 v182, v18, v182                              // 0000000083F8: 0B6D6D12
	v_mul_f32_e32 v183, v18, v183                              // 0000000083FC: 0B6F6F12
	v_mul_f32_e32 v184, v22, v184                              // 000000008400: 0B717116
	v_mul_f32_e32 v185, v22, v185                              // 000000008404: 0B737316
	v_mul_f32_e32 v186, v22, v186                              // 000000008408: 0B757516
	v_mul_f32_e32 v187, v22, v187                              // 00000000840C: 0B777716
	v_mul_f32_dpp v184, v11, v184 row_newbcast:12 row_mask:0xf bank_mask:0xf// 000000008410: 0B7170FA FF015C0B
	v_mul_f32_dpp v185, v11, v185 row_newbcast:13 row_mask:0xf bank_mask:0xf// 000000008418: 0B7372FA FF015D0B
	v_mul_f32_dpp v186, v11, v186 row_newbcast:14 row_mask:0xf bank_mask:0xf// 000000008420: 0B7574FA FF015E0B
	v_mul_f32_dpp v187, v11, v187 row_newbcast:15 row_mask:0xf bank_mask:0xf// 000000008428: 0B7776FA FF015F0B
	v_mul_f32_e32 v184, v17, v184                              // 000000008430: 0B717111
	v_mul_f32_e32 v185, v17, v185                              // 000000008434: 0B737311
	v_mul_f32_e32 v186, v17, v186                              // 000000008438: 0B757511
	v_mul_f32_e32 v187, v17, v187                              // 00000000843C: 0B777711
	v_mul_f32_e32 v188, v23, v188                              // 000000008440: 0B797917
	v_mul_f32_e32 v189, v23, v189                              // 000000008444: 0B7B7B17
	v_mul_f32_e32 v190, v23, v190                              // 000000008448: 0B7D7D17
	v_mul_f32_e32 v191, v23, v191                              // 00000000844C: 0B7F7F17
	v_mul_f32_dpp v188, v11, v188 row_newbcast:12 row_mask:0xf bank_mask:0xf// 000000008450: 0B7978FA FF015C0B
	v_mul_f32_dpp v189, v11, v189 row_newbcast:13 row_mask:0xf bank_mask:0xf// 000000008458: 0B7B7AFA FF015D0B
	v_mul_f32_dpp v190, v11, v190 row_newbcast:14 row_mask:0xf bank_mask:0xf// 000000008460: 0B7D7CFA FF015E0B
	v_mul_f32_dpp v191, v11, v191 row_newbcast:15 row_mask:0xf bank_mask:0xf// 000000008468: 0B7F7EFA FF015F0B
	v_mul_f32_e32 v188, v18, v188                              // 000000008470: 0B797912
	v_mul_f32_e32 v189, v18, v189                              // 000000008474: 0B7B7B12
	v_mul_f32_e32 v190, v18, v190                              // 000000008478: 0B7D7D12
	v_mul_f32_e32 v191, v18, v191                              // 00000000847C: 0B7F7F12
	v_cmp_u_f32_e64 s[48:49], v160, v160                       // 000000008480: D0480030 000341A0
	v_add3_u32 v40, v160, v43, 1                               // 000000008488: D1FF0028 020657A0
	v_cndmask_b32_e64 v46, v40, v42, s[48:49]                  // 000000008490: D100002E 00C25528
	v_cmp_u_f32_e64 s[48:49], v161, v161                       // 000000008498: D0480030 000343A1
	v_add3_u32 v40, v161, v43, 1                               // 0000000084A0: D1FF0028 020657A1
	v_cndmask_b32_e64 v47, v40, v42, s[48:49]                  // 0000000084A8: D100002F 00C25528
	v_perm_b32 v160, v47, v46, s52                             // 0000000084B0: D1ED00A0 00D25D2F
	v_cmp_u_f32_e64 s[48:49], v162, v162                       // 0000000084B8: D0480030 000345A2
	v_add3_u32 v40, v162, v43, 1                               // 0000000084C0: D1FF0028 020657A2
	v_cndmask_b32_e64 v46, v40, v42, s[48:49]                  // 0000000084C8: D100002E 00C25528
	v_cmp_u_f32_e64 s[48:49], v163, v163                       // 0000000084D0: D0480030 000347A3
	v_add3_u32 v40, v163, v43, 1                               // 0000000084D8: D1FF0028 020657A3
	v_cndmask_b32_e64 v47, v40, v42, s[48:49]                  // 0000000084E0: D100002F 00C25528
	v_perm_b32 v161, v47, v46, s52                             // 0000000084E8: D1ED00A1 00D25D2F
	v_cmp_u_f32_e64 s[48:49], v164, v164                       // 0000000084F0: D0480030 000349A4
	v_add3_u32 v40, v164, v43, 1                               // 0000000084F8: D1FF0028 020657A4
	v_cndmask_b32_e64 v46, v40, v42, s[48:49]                  // 000000008500: D100002E 00C25528
	v_cmp_u_f32_e64 s[48:49], v165, v165                       // 000000008508: D0480030 00034BA5
	v_add3_u32 v40, v165, v43, 1                               // 000000008510: D1FF0028 020657A5
	v_cndmask_b32_e64 v47, v40, v42, s[48:49]                  // 000000008518: D100002F 00C25528
	v_perm_b32 v162, v47, v46, s52                             // 000000008520: D1ED00A2 00D25D2F
	v_cmp_u_f32_e64 s[48:49], v166, v166                       // 000000008528: D0480030 00034DA6
	v_add3_u32 v40, v166, v43, 1                               // 000000008530: D1FF0028 020657A6
	v_cndmask_b32_e64 v46, v40, v42, s[48:49]                  // 000000008538: D100002E 00C25528
	v_cmp_u_f32_e64 s[48:49], v167, v167                       // 000000008540: D0480030 00034FA7
	v_add3_u32 v40, v167, v43, 1                               // 000000008548: D1FF0028 020657A7
	v_cndmask_b32_e64 v47, v40, v42, s[48:49]                  // 000000008550: D100002F 00C25528
	v_perm_b32 v163, v47, v46, s52                             // 000000008558: D1ED00A3 00D25D2F
	v_cmp_u_f32_e64 s[48:49], v168, v168                       // 000000008560: D0480030 000351A8
	v_add3_u32 v40, v168, v43, 1                               // 000000008568: D1FF0028 020657A8
	v_cndmask_b32_e64 v46, v40, v42, s[48:49]                  // 000000008570: D100002E 00C25528
	v_cmp_u_f32_e64 s[48:49], v169, v169                       // 000000008578: D0480030 000353A9
	v_add3_u32 v40, v169, v43, 1                               // 000000008580: D1FF0028 020657A9
	v_cndmask_b32_e64 v47, v40, v42, s[48:49]                  // 000000008588: D100002F 00C25528
	v_perm_b32 v164, v47, v46, s52                             // 000000008590: D1ED00A4 00D25D2F
	v_cmp_u_f32_e64 s[48:49], v170, v170                       // 000000008598: D0480030 000355AA
	v_add3_u32 v40, v170, v43, 1                               // 0000000085A0: D1FF0028 020657AA
	v_cndmask_b32_e64 v46, v40, v42, s[48:49]                  // 0000000085A8: D100002E 00C25528
	v_cmp_u_f32_e64 s[48:49], v171, v171                       // 0000000085B0: D0480030 000357AB
	v_add3_u32 v40, v171, v43, 1                               // 0000000085B8: D1FF0028 020657AB
	v_cndmask_b32_e64 v47, v40, v42, s[48:49]                  // 0000000085C0: D100002F 00C25528
	v_perm_b32 v165, v47, v46, s52                             // 0000000085C8: D1ED00A5 00D25D2F
	v_cmp_u_f32_e64 s[48:49], v172, v172                       // 0000000085D0: D0480030 000359AC
	v_add3_u32 v40, v172, v43, 1                               // 0000000085D8: D1FF0028 020657AC
	v_cndmask_b32_e64 v46, v40, v42, s[48:49]                  // 0000000085E0: D100002E 00C25528
	v_cmp_u_f32_e64 s[48:49], v173, v173                       // 0000000085E8: D0480030 00035BAD
	v_add3_u32 v40, v173, v43, 1                               // 0000000085F0: D1FF0028 020657AD
	v_cndmask_b32_e64 v47, v40, v42, s[48:49]                  // 0000000085F8: D100002F 00C25528
	v_perm_b32 v166, v47, v46, s52                             // 000000008600: D1ED00A6 00D25D2F
	v_cmp_u_f32_e64 s[48:49], v174, v174                       // 000000008608: D0480030 00035DAE
	v_add3_u32 v40, v174, v43, 1                               // 000000008610: D1FF0028 020657AE
	v_cndmask_b32_e64 v46, v40, v42, s[48:49]                  // 000000008618: D100002E 00C25528
	v_cmp_u_f32_e64 s[48:49], v175, v175                       // 000000008620: D0480030 00035FAF
	v_add3_u32 v40, v175, v43, 1                               // 000000008628: D1FF0028 020657AF
	v_cndmask_b32_e64 v47, v40, v42, s[48:49]                  // 000000008630: D100002F 00C25528
	v_perm_b32 v167, v47, v46, s52                             // 000000008638: D1ED00A7 00D25D2F
	v_cmp_u_f32_e64 s[48:49], v176, v176                       // 000000008640: D0480030 000361B0
	v_add3_u32 v40, v176, v43, 1                               // 000000008648: D1FF0028 020657B0
	v_cndmask_b32_e64 v46, v40, v42, s[48:49]                  // 000000008650: D100002E 00C25528
	v_cmp_u_f32_e64 s[48:49], v177, v177                       // 000000008658: D0480030 000363B1
	v_add3_u32 v40, v177, v43, 1                               // 000000008660: D1FF0028 020657B1
	v_cndmask_b32_e64 v47, v40, v42, s[48:49]                  // 000000008668: D100002F 00C25528
	v_perm_b32 v168, v47, v46, s52                             // 000000008670: D1ED00A8 00D25D2F
	v_cmp_u_f32_e64 s[48:49], v178, v178                       // 000000008678: D0480030 000365B2
	v_add3_u32 v40, v178, v43, 1                               // 000000008680: D1FF0028 020657B2
	v_cndmask_b32_e64 v46, v40, v42, s[48:49]                  // 000000008688: D100002E 00C25528
	v_cmp_u_f32_e64 s[48:49], v179, v179                       // 000000008690: D0480030 000367B3
	v_add3_u32 v40, v179, v43, 1                               // 000000008698: D1FF0028 020657B3
	v_cndmask_b32_e64 v47, v40, v42, s[48:49]                  // 0000000086A0: D100002F 00C25528
	v_perm_b32 v169, v47, v46, s52                             // 0000000086A8: D1ED00A9 00D25D2F
	v_cmp_u_f32_e64 s[48:49], v180, v180                       // 0000000086B0: D0480030 000369B4
	v_add3_u32 v40, v180, v43, 1                               // 0000000086B8: D1FF0028 020657B4
	v_cndmask_b32_e64 v46, v40, v42, s[48:49]                  // 0000000086C0: D100002E 00C25528
	v_cmp_u_f32_e64 s[48:49], v181, v181                       // 0000000086C8: D0480030 00036BB5
	v_add3_u32 v40, v181, v43, 1                               // 0000000086D0: D1FF0028 020657B5
	v_cndmask_b32_e64 v47, v40, v42, s[48:49]                  // 0000000086D8: D100002F 00C25528
	v_perm_b32 v170, v47, v46, s52                             // 0000000086E0: D1ED00AA 00D25D2F
	v_cmp_u_f32_e64 s[48:49], v182, v182                       // 0000000086E8: D0480030 00036DB6
	v_add3_u32 v40, v182, v43, 1                               // 0000000086F0: D1FF0028 020657B6
	v_cndmask_b32_e64 v46, v40, v42, s[48:49]                  // 0000000086F8: D100002E 00C25528
	v_cmp_u_f32_e64 s[48:49], v183, v183                       // 000000008700: D0480030 00036FB7
	v_add3_u32 v40, v183, v43, 1                               // 000000008708: D1FF0028 020657B7
	v_cndmask_b32_e64 v47, v40, v42, s[48:49]                  // 000000008710: D100002F 00C25528
	v_perm_b32 v171, v47, v46, s52                             // 000000008718: D1ED00AB 00D25D2F
	v_cmp_u_f32_e64 s[48:49], v184, v184                       // 000000008720: D0480030 000371B8
	v_add3_u32 v40, v184, v43, 1                               // 000000008728: D1FF0028 020657B8
	v_cndmask_b32_e64 v46, v40, v42, s[48:49]                  // 000000008730: D100002E 00C25528
	v_cmp_u_f32_e64 s[48:49], v185, v185                       // 000000008738: D0480030 000373B9
	v_add3_u32 v40, v185, v43, 1                               // 000000008740: D1FF0028 020657B9
	v_cndmask_b32_e64 v47, v40, v42, s[48:49]                  // 000000008748: D100002F 00C25528
	v_perm_b32 v172, v47, v46, s52                             // 000000008750: D1ED00AC 00D25D2F
	v_cmp_u_f32_e64 s[48:49], v186, v186                       // 000000008758: D0480030 000375BA
	v_add3_u32 v40, v186, v43, 1                               // 000000008760: D1FF0028 020657BA
	v_cndmask_b32_e64 v46, v40, v42, s[48:49]                  // 000000008768: D100002E 00C25528
	v_cmp_u_f32_e64 s[48:49], v187, v187                       // 000000008770: D0480030 000377BB
	v_add3_u32 v40, v187, v43, 1                               // 000000008778: D1FF0028 020657BB
	v_cndmask_b32_e64 v47, v40, v42, s[48:49]                  // 000000008780: D100002F 00C25528
	v_perm_b32 v173, v47, v46, s52                             // 000000008788: D1ED00AD 00D25D2F
	v_cmp_u_f32_e64 s[48:49], v188, v188                       // 000000008790: D0480030 000379BC
	v_add3_u32 v40, v188, v43, 1                               // 000000008798: D1FF0028 020657BC
	v_cndmask_b32_e64 v46, v40, v42, s[48:49]                  // 0000000087A0: D100002E 00C25528
	v_cmp_u_f32_e64 s[48:49], v189, v189                       // 0000000087A8: D0480030 00037BBD
	v_add3_u32 v40, v189, v43, 1                               // 0000000087B0: D1FF0028 020657BD
	v_cndmask_b32_e64 v47, v40, v42, s[48:49]                  // 0000000087B8: D100002F 00C25528
	v_perm_b32 v174, v47, v46, s52                             // 0000000087C0: D1ED00AE 00D25D2F
	v_cmp_u_f32_e64 s[48:49], v190, v190                       // 0000000087C8: D0480030 00037DBE
	v_add3_u32 v40, v190, v43, 1                               // 0000000087D0: D1FF0028 020657BE
	v_cndmask_b32_e64 v46, v40, v42, s[48:49]                  // 0000000087D8: D100002E 00C25528
	v_cmp_u_f32_e64 s[48:49], v191, v191                       // 0000000087E0: D0480030 00037FBF
	v_add3_u32 v40, v191, v43, 1                               // 0000000087E8: D1FF0028 020657BF
	v_cndmask_b32_e64 v47, v40, v42, s[48:49]                  // 0000000087F0: D100002F 00C25528
	v_perm_b32 v175, v47, v46, s52                             // 0000000087F8: D1ED00AF 00D25D2F
	s_cmp_ge_u32 s80, 0x200                                    // 000000008800: BF09FF50 00000200
	s_cselect_b32 s59, 0x200, s59                              // 000000008808: 853B3BFF 00000200
	s_setvskip s20, 0                                          // 000000008810: BF108014
	global_atomic_pk_add_bf16 v80, v64, s[8:9]                 // 000000008814: DD488000 00084050
	s_setvskip 0, 0                                            // 00000000881C: BF108080
	s_setvskip s20, 0                                          // 000000008820: BF108014
	global_atomic_pk_add_bf16 v80, v65, s[8:9] offset:256      // 000000008824: DD488100 00084150
	s_setvskip 0, 0                                            // 00000000882C: BF108080
	s_setvskip s20, 1                                          // 000000008830: BF108114
	global_atomic_pk_add_bf16 v82, v66, s[8:9]                 // 000000008834: DD488000 00084252
	s_setvskip 0, 0                                            // 00000000883C: BF108080
	s_setvskip s20, 1                                          // 000000008840: BF108114
	global_atomic_pk_add_bf16 v82, v67, s[8:9] offset:256      // 000000008844: DD488100 00084352
	s_setvskip 0, 0                                            // 00000000884C: BF108080
	s_setvskip s20, 2                                          // 000000008850: BF108214
	global_atomic_pk_add_bf16 v84, v68, s[8:9]                 // 000000008854: DD488000 00084454
	s_setvskip 0, 0                                            // 00000000885C: BF108080
	s_setvskip s20, 2                                          // 000000008860: BF108214
	global_atomic_pk_add_bf16 v84, v69, s[8:9] offset:256      // 000000008864: DD488100 00084554
	s_setvskip 0, 0                                            // 00000000886C: BF108080
	s_setvskip s20, 3                                          // 000000008870: BF108314
	global_atomic_pk_add_bf16 v86, v70, s[8:9]                 // 000000008874: DD488000 00084656
	s_setvskip 0, 0                                            // 00000000887C: BF108080
	s_setvskip s20, 3                                          // 000000008880: BF108314
	global_atomic_pk_add_bf16 v86, v71, s[8:9] offset:256      // 000000008884: DD488100 00084756
	s_setvskip 0, 0                                            // 00000000888C: BF108080
	s_setvskip s20, 4                                          // 000000008890: BF108414
	global_atomic_pk_add_bf16 v88, v72, s[8:9]                 // 000000008894: DD488000 00084858
	s_setvskip 0, 0                                            // 00000000889C: BF108080
	s_setvskip s20, 4                                          // 0000000088A0: BF108414
	global_atomic_pk_add_bf16 v88, v73, s[8:9] offset:256      // 0000000088A4: DD488100 00084958
	s_setvskip 0, 0                                            // 0000000088AC: BF108080
	s_setvskip s20, 5                                          // 0000000088B0: BF108514
	global_atomic_pk_add_bf16 v90, v74, s[8:9]                 // 0000000088B4: DD488000 00084A5A
	s_setvskip 0, 0                                            // 0000000088BC: BF108080
	s_setvskip s20, 5                                          // 0000000088C0: BF108514
	global_atomic_pk_add_bf16 v90, v75, s[8:9] offset:256      // 0000000088C4: DD488100 00084B5A
	s_setvskip 0, 0                                            // 0000000088CC: BF108080
	s_setvskip s20, 6                                          // 0000000088D0: BF108614
	global_atomic_pk_add_bf16 v92, v76, s[8:9]                 // 0000000088D4: DD488000 00084C5C
	s_setvskip 0, 0                                            // 0000000088DC: BF108080
	s_setvskip s20, 6                                          // 0000000088E0: BF108614
	global_atomic_pk_add_bf16 v92, v77, s[8:9] offset:256      // 0000000088E4: DD488100 00084D5C
	s_setvskip 0, 0                                            // 0000000088EC: BF108080
	s_setvskip s20, 7                                          // 0000000088F0: BF108714
	global_atomic_pk_add_bf16 v94, v78, s[8:9]                 // 0000000088F4: DD488000 00084E5E
	s_setvskip 0, 0                                            // 0000000088FC: BF108080
	s_setvskip s20, 7                                          // 000000008900: BF108714
	global_atomic_pk_add_bf16 v94, v79, s[8:9] offset:256      // 000000008904: DD488100 00084F5E
	s_setvskip 0, 0                                            // 00000000890C: BF108080
	s_add_u32 s8, s59, s8                                      // 000000008910: 8008083B
	s_addc_u32 s9, 0, s9                                       // 000000008914: 82090980
	s_addk_i32 s80, 0x100                                      // 000000008918: B7500100
	s_cmp_lt_i32 s80, s81                                      // 00000000891C: BF045150
	s_cbranch_scc0 label_0DCB                                  // 000000008920: BF84F702
	s_waitcnt vmcnt(13) lgkmcnt(0)                             // 000000008924: BF8C007D
	s_barrier                                                  // 000000008928: BF8A0000
	v_mfma_f32_16x16x32_fp8_fp8 v[192:195], a[64:65], v[128:129], 0// 00000000892C: D3F300C0 0A030140
	buffer_load_dwordx4 a[0:3], v36, s[12:15], 0 offen         // 000000008934: E05C1000 80830024
	v_mfma_f32_16x16x32_fp8_fp8 v[192:195], a[66:67], v[130:131], v[192:195]// 00000000893C: D3F300C0 0F030542
	ds_read_b32 v64, v4 offset:36096                           // 000000008944: D86C8D00 40000004
	ds_read_b32 v65, v4 offset:40448                           // 00000000894C: D86C9E00 41000004
	v_mfma_f32_16x16x32_fp8_fp8 v[196:199], a[64:65], v[144:145], 0// 000000008954: D3F300C4 0A032140
	v_mfma_f32_16x16x32_fp8_fp8 v[196:199], a[66:67], v[146:147], v[196:199]// 00000000895C: D3F300C4 0F132542
	ds_read_b32 v66, v4 offset:36128                           // 000000008964: D86C8D20 42000004
	ds_read_b32 v67, v4 offset:40480                           // 00000000896C: D86C9E20 43000004
	v_mfma_f32_16x16x32_fp8_fp8 v[200:203], a[68:69], v[128:129], 0// 000000008974: D3F300C8 0A030144
	buffer_load_dwordx4 a[4:7], v37, s[12:15], 0 offen         // 00000000897C: E05C1000 80830425
	v_mfma_f32_16x16x32_fp8_fp8 v[200:203], a[70:71], v[130:131], v[200:203]// 000000008984: D3F300C8 0F230546
	ds_read_b32 v68, v4 offset:36160                           // 00000000898C: D86C8D40 44000004
	ds_read_b32 v69, v4 offset:40512                           // 000000008994: D86C9E40 45000004
	v_mfma_f32_16x16x32_fp8_fp8 v[204:207], a[68:69], v[144:145], 0// 00000000899C: D3F300CC 0A032144
	v_mfma_f32_16x16x32_fp8_fp8 v[204:207], a[70:71], v[146:147], v[204:207]// 0000000089A4: D3F300CC 0F332546
	ds_read_b32 v70, v4 offset:36192                           // 0000000089AC: D86C8D60 46000004
	ds_read_b32 v71, v4 offset:40544                           // 0000000089B4: D86C9E60 47000004
	v_mfma_f32_16x16x32_fp8_fp8 v[208:211], a[72:73], v[128:129], 0// 0000000089BC: D3F300D0 0A030148
	buffer_load_dwordx4 a[8:11], v38, s[12:15], 0 offen        // 0000000089C4: E05C1000 80830826
	v_mfma_f32_16x16x32_fp8_fp8 v[208:211], a[74:75], v[130:131], v[208:211]// 0000000089CC: D3F300D0 0F43054A
	ds_read_b32 v72, v4 offset:44800                           // 0000000089D4: D86CAF00 48000004
	ds_read_b32 v73, v4 offset:49152                           // 0000000089DC: D86CC000 49000004
	v_mfma_f32_16x16x32_fp8_fp8 v[212:215], a[72:73], v[144:145], 0// 0000000089E4: D3F300D4 0A032148
	v_mfma_f32_16x16x32_fp8_fp8 v[212:215], a[74:75], v[146:147], v[212:215]// 0000000089EC: D3F300D4 0F53254A
	ds_read_b32 v74, v4 offset:44832                           // 0000000089F4: D86CAF20 4A000004
	ds_read_b32 v75, v4 offset:49184                           // 0000000089FC: D86CC020 4B000004
	v_mfma_f32_16x16x32_fp8_fp8 v[216:219], a[76:77], v[128:129], 0// 000000008A04: D3F300D8 0A03014C
	buffer_load_dwordx4 a[12:15], v39, s[12:15], 0 offen       // 000000008A0C: E05C1000 80830C27
	s_add_u32 s12, s78, s12                                    // 000000008A14: 800C0C4E
	s_addc_u32 s13, 0, s13                                     // 000000008A18: 820D0D80
	v_mfma_f32_16x16x32_fp8_fp8 v[216:219], a[78:79], v[130:131], v[216:219]// 000000008A1C: D3F300D8 0F63054E
	ds_read_b32 v76, v4 offset:44864                           // 000000008A24: D86CAF40 4C000004
	ds_read_b32 v77, v4 offset:49216                           // 000000008A2C: D86CC040 4D000004
	v_mfma_f32_16x16x32_fp8_fp8 v[220:223], a[76:77], v[144:145], 0// 000000008A34: D3F300DC 0A03214C
	v_mfma_f32_16x16x32_fp8_fp8 v[220:223], a[78:79], v[146:147], v[220:223]// 000000008A3C: D3F300DC 0F73254E
	ds_read_b32 v78, v4 offset:44896                           // 000000008A44: D86CAF60 4E000004
	ds_read_b32 v79, v4 offset:49248                           // 000000008A4C: D86CC060 4F000004
	s_waitcnt vmcnt(13)                                        // 000000008A54: BF8C0F7D
	v_mfma_f32_16x16x32_fp8_fp8 v[192:195], a[80:81], v[132:133], v[192:195]// 000000008A58: D3F300C0 0F030950
	buffer_load_dwordx4 a[16:19], v36, s[12:15], 0 offen       // 000000008A60: E05C1000 80831024
	v_mfma_f32_16x16x32_fp8_fp8 v[192:195], a[82:83], v[134:135], v[192:195]// 000000008A68: D3F300C0 0F030D52
	v_mfma_f32_16x16x32_fp8_fp8 v[196:199], a[80:81], v[148:149], v[196:199]// 000000008A70: D3F300C4 0F132950
	v_mfma_f32_16x16x32_fp8_fp8 v[196:199], a[82:83], v[150:151], v[196:199]// 000000008A78: D3F300C4 0F132D52
	v_mfma_f32_16x16x32_fp8_fp8 v[200:203], a[84:85], v[132:133], v[200:203]// 000000008A80: D3F300C8 0F230954
	buffer_load_dwordx4 a[20:23], v37, s[12:15], 0 offen       // 000000008A88: E05C1000 80831425
	v_mfma_f32_16x16x32_fp8_fp8 v[200:203], a[86:87], v[134:135], v[200:203]// 000000008A90: D3F300C8 0F230D56
	v_mfma_f32_16x16x32_fp8_fp8 v[204:207], a[84:85], v[148:149], v[204:207]// 000000008A98: D3F300CC 0F332954
	v_mfma_f32_16x16x32_fp8_fp8 v[204:207], a[86:87], v[150:151], v[204:207]// 000000008AA0: D3F300CC 0F332D56
	v_mfma_f32_16x16x32_fp8_fp8 v[208:211], a[88:89], v[132:133], v[208:211]// 000000008AA8: D3F300D0 0F430958
	buffer_load_dwordx4 a[24:27], v38, s[12:15], 0 offen       // 000000008AB0: E05C1000 80831826
	v_mfma_f32_16x16x32_fp8_fp8 v[208:211], a[90:91], v[134:135], v[208:211]// 000000008AB8: D3F300D0 0F430D5A
	v_mfma_f32_16x16x32_fp8_fp8 v[212:215], a[88:89], v[148:149], v[212:215]// 000000008AC0: D3F300D4 0F532958
	v_mfma_f32_16x16x32_fp8_fp8 v[212:215], a[90:91], v[150:151], v[212:215]// 000000008AC8: D3F300D4 0F532D5A
	v_mfma_f32_16x16x32_fp8_fp8 v[216:219], a[92:93], v[132:133], v[216:219]// 000000008AD0: D3F300D8 0F63095C
	buffer_load_dwordx4 a[28:31], v39, s[12:15], 0 offen       // 000000008AD8: E05C1000 80831C27
	s_add_u32 s12, s78, s12                                    // 000000008AE0: 800C0C4E
	s_addc_u32 s13, 0, s13                                     // 000000008AE4: 820D0D80
	v_mfma_f32_16x16x32_fp8_fp8 v[216:219], a[94:95], v[134:135], v[216:219]// 000000008AE8: D3F300D8 0F630D5E
	v_mfma_f32_16x16x32_fp8_fp8 v[220:223], a[92:93], v[148:149], v[220:223]// 000000008AF0: D3F300DC 0F73295C
	v_mfma_f32_16x16x32_fp8_fp8 v[220:223], a[94:95], v[150:151], v[220:223]// 000000008AF8: D3F300DC 0F732D5E
	s_waitcnt vmcnt(13)                                        // 000000008B00: BF8C0F7D
	v_mfma_f32_16x16x32_fp8_fp8 v[192:195], a[96:97], v[136:137], v[192:195]// 000000008B04: D3F300C0 0F031160
	buffer_load_dwordx4 a[32:35], v36, s[12:15], 0 offen       // 000000008B0C: E05C1000 80832024
	v_mfma_f32_16x16x32_fp8_fp8 v[192:195], a[98:99], v[138:139], v[192:195]// 000000008B14: D3F300C0 0F031562
	ds_write_b64 v3, v[160:161] offset:18688                   // 000000008B1C: D89A4900 0000A003
	v_mfma_f32_16x16x32_fp8_fp8 v[196:199], a[96:97], v[152:153], v[196:199]// 000000008B24: D3F300C4 0F133160
	v_mfma_f32_16x16x32_fp8_fp8 v[196:199], a[98:99], v[154:155], v[196:199]// 000000008B2C: D3F300C4 0F133562
	ds_write_b64 v3, v[162:163] offset:27392                   // 000000008B34: D89A6B00 0000A203
	v_mfma_f32_16x16x32_fp8_fp8 v[200:203], a[100:101], v[136:137], v[200:203]// 000000008B3C: D3F300C8 0F231164
	buffer_load_dwordx4 a[36:39], v37, s[12:15], 0 offen       // 000000008B44: E05C1000 80832425
	v_mfma_f32_16x16x32_fp8_fp8 v[200:203], a[102:103], v[138:139], v[200:203]// 000000008B4C: D3F300C8 0F231566
	ds_write_b64 v3, v[164:165] offset:20864                   // 000000008B54: D89A5180 0000A403
	v_mfma_f32_16x16x32_fp8_fp8 v[204:207], a[100:101], v[152:153], v[204:207]// 000000008B5C: D3F300CC 0F333164
	v_mfma_f32_16x16x32_fp8_fp8 v[204:207], a[102:103], v[154:155], v[204:207]// 000000008B64: D3F300CC 0F333566
	ds_write_b64 v3, v[166:167] offset:29568                   // 000000008B6C: D89A7380 0000A603
	v_mfma_f32_16x16x32_fp8_fp8 v[208:211], a[104:105], v[136:137], v[208:211]// 000000008B74: D3F300D0 0F431168
	buffer_load_dwordx4 a[40:43], v38, s[12:15], 0 offen       // 000000008B7C: E05C1000 80832826
	v_mfma_f32_16x16x32_fp8_fp8 v[208:211], a[106:107], v[138:139], v[208:211]// 000000008B84: D3F300D0 0F43156A
	ds_write_b64 v3, v[168:169] offset:23040                   // 000000008B8C: D89A5A00 0000A803
	v_mfma_f32_16x16x32_fp8_fp8 v[212:215], a[104:105], v[152:153], v[212:215]// 000000008B94: D3F300D4 0F533168
	v_mfma_f32_16x16x32_fp8_fp8 v[212:215], a[106:107], v[154:155], v[212:215]// 000000008B9C: D3F300D4 0F53356A
	ds_write_b64 v3, v[170:171] offset:31744                   // 000000008BA4: D89A7C00 0000AA03
	v_mfma_f32_16x16x32_fp8_fp8 v[216:219], a[108:109], v[136:137], v[216:219]// 000000008BAC: D3F300D8 0F63116C
	buffer_load_dwordx4 a[44:47], v39, s[12:15], 0 offen       // 000000008BB4: E05C1000 80832C27
	s_add_u32 s12, s78, s12                                    // 000000008BBC: 800C0C4E
	s_addc_u32 s13, 0, s13                                     // 000000008BC0: 820D0D80
	v_mfma_f32_16x16x32_fp8_fp8 v[216:219], a[110:111], v[138:139], v[216:219]// 000000008BC4: D3F300D8 0F63156E
	ds_write_b64 v3, v[172:173] offset:25216                   // 000000008BCC: D89A6280 0000AC03
	v_mfma_f32_16x16x32_fp8_fp8 v[220:223], a[108:109], v[152:153], v[220:223]// 000000008BD4: D3F300DC 0F73316C
	v_mfma_f32_16x16x32_fp8_fp8 v[220:223], a[110:111], v[154:155], v[220:223]// 000000008BDC: D3F300DC 0F73356E
	ds_write_b64 v3, v[174:175] offset:33920                   // 000000008BE4: D89A8480 0000AE03
	s_waitcnt vmcnt(12)                                        // 000000008BEC: BF8C0F7C
	v_mfma_f32_16x16x32_fp8_fp8 v[192:195], a[112:113], v[140:141], v[192:195]// 000000008BF0: D3F300C0 0F031970
	buffer_load_dwordx4 a[48:51], v36, s[12:15], 0 offen       // 000000008BF8: E05C1000 80833024
	v_mfma_f32_16x16x32_fp8_fp8 v[192:195], a[114:115], v[142:143], v[192:195]// 000000008C00: D3F300C0 0F031D72
	v_mfma_f32_16x16x32_fp8_fp8 v[196:199], a[112:113], v[156:157], v[196:199]// 000000008C08: D3F300C4 0F133970
	buffer_load_dword v11, v5, s[16:19], 0 offen               // 000000008C10: E0501000 80040B05
	v_mfma_f32_16x16x32_fp8_fp8 v[196:199], a[114:115], v[158:159], v[196:199]// 000000008C18: D3F300C4 0F133D72
	v_mfma_f32_16x16x32_fp8_fp8 v[200:203], a[116:117], v[140:141], v[200:203]// 000000008C20: D3F300C8 0F231974
	buffer_load_dwordx4 a[52:55], v37, s[12:15], 0 offen       // 000000008C28: E05C1000 80833425
	v_mfma_f32_16x16x32_fp8_fp8 v[200:203], a[118:119], v[142:143], v[200:203]// 000000008C30: D3F300C8 0F231D76
	v_mfma_f32_16x16x32_fp8_fp8 v[204:207], a[116:117], v[156:157], v[204:207]// 000000008C38: D3F300CC 0F333974
	v_mfma_f32_16x16x32_fp8_fp8 v[204:207], a[118:119], v[158:159], v[204:207]// 000000008C40: D3F300CC 0F333D76
	v_mfma_f32_16x16x32_fp8_fp8 v[208:211], a[120:121], v[140:141], v[208:211]// 000000008C48: D3F300D0 0F431978
	buffer_load_dwordx4 a[56:59], v38, s[12:15], 0 offen       // 000000008C50: E05C1000 80833826
	v_mfma_f32_16x16x32_fp8_fp8 v[208:211], a[122:123], v[142:143], v[208:211]// 000000008C58: D3F300D0 0F431D7A
	v_mfma_f32_16x16x32_fp8_fp8 v[212:215], a[120:121], v[156:157], v[212:215]// 000000008C60: D3F300D4 0F533978
	v_mfma_f32_16x16x32_fp8_fp8 v[212:215], a[122:123], v[158:159], v[212:215]// 000000008C68: D3F300D4 0F533D7A
	v_mfma_f32_16x16x32_fp8_fp8 v[216:219], a[124:125], v[140:141], v[216:219]// 000000008C70: D3F300D8 0F63197C
	buffer_load_dwordx4 a[60:63], v39, s[12:15], 0 offen       // 000000008C78: E05C1000 80833C27
	v_mfma_f32_16x16x32_fp8_fp8 v[216:219], a[126:127], v[142:143], v[216:219]// 000000008C80: D3F300D8 0F631D7E
	v_mfma_f32_16x16x32_fp8_fp8 v[220:223], a[124:125], v[156:157], v[220:223]// 000000008C88: D3F300DC 0F73397C
	v_mfma_f32_16x16x32_fp8_fp8 v[220:223], a[126:127], v[158:159], v[220:223]// 000000008C90: D3F300DC 0F733D7E
	s_add_u32 s60, 0x200, s80                                  // 000000008C98: 803C50FF 00000200
	s_cmp_lt_u32 s60, s81                                      // 000000008CA0: BF0A513C
	s_cselect_b32 s56, s56, 0                                  // 000000008CA4: 85388038
	s_cselect_b32 s78, s78, 0                                  // 000000008CA8: 854E804E
	s_cselect_b32 s79, s79, 0                                  // 000000008CAC: 854F804F
	s_add_u32 s12, s56, s12                                    // 000000008CB0: 800C0C38
	s_addc_u32 s13, 0, s13                                     // 000000008CB4: 820D0D80
	s_add_u32 s16, s79, s16                                    // 000000008CB8: 8010104F
	s_addc_u32 s17, 0, s17                                     // 000000008CBC: 82111180
	v_mul_f32_e32 v192, v22, v192                              // 000000008CC0: 0B818116
	v_mul_f32_e32 v193, v22, v193                              // 000000008CC4: 0B838316
	v_mul_f32_e32 v194, v22, v194                              // 000000008CC8: 0B858516
	v_mul_f32_e32 v195, v22, v195                              // 000000008CCC: 0B878716
	v_mul_f32_dpp v192, v12, v192 row_newbcast:0 row_mask:0xf bank_mask:0xf// 000000008CD0: 0B8180FA FF01500C
	v_mul_f32_dpp v193, v12, v193 row_newbcast:1 row_mask:0xf bank_mask:0xf// 000000008CD8: 0B8382FA FF01510C
	v_mul_f32_dpp v194, v12, v194 row_newbcast:2 row_mask:0xf bank_mask:0xf// 000000008CE0: 0B8584FA FF01520C
	v_mul_f32_dpp v195, v12, v195 row_newbcast:3 row_mask:0xf bank_mask:0xf// 000000008CE8: 0B8786FA FF01530C
	v_mul_f32_e32 v192, v17, v192                              // 000000008CF0: 0B818111
	v_mul_f32_e32 v193, v17, v193                              // 000000008CF4: 0B838311
	v_mul_f32_e32 v194, v17, v194                              // 000000008CF8: 0B858511
	v_mul_f32_e32 v195, v17, v195                              // 000000008CFC: 0B878711
	v_mul_f32_e32 v196, v23, v196                              // 000000008D00: 0B898917
	v_mul_f32_e32 v197, v23, v197                              // 000000008D04: 0B8B8B17
	v_mul_f32_e32 v198, v23, v198                              // 000000008D08: 0B8D8D17
	v_mul_f32_e32 v199, v23, v199                              // 000000008D0C: 0B8F8F17
	v_mul_f32_dpp v196, v12, v196 row_newbcast:0 row_mask:0xf bank_mask:0xf// 000000008D10: 0B8988FA FF01500C
	v_mul_f32_dpp v197, v12, v197 row_newbcast:1 row_mask:0xf bank_mask:0xf// 000000008D18: 0B8B8AFA FF01510C
	v_mul_f32_dpp v198, v12, v198 row_newbcast:2 row_mask:0xf bank_mask:0xf// 000000008D20: 0B8D8CFA FF01520C
	v_mul_f32_dpp v199, v12, v199 row_newbcast:3 row_mask:0xf bank_mask:0xf// 000000008D28: 0B8F8EFA FF01530C
	v_mul_f32_e32 v196, v18, v196                              // 000000008D30: 0B898912
	v_mul_f32_e32 v197, v18, v197                              // 000000008D34: 0B8B8B12
	v_mul_f32_e32 v198, v18, v198                              // 000000008D38: 0B8D8D12
	v_mul_f32_e32 v199, v18, v199                              // 000000008D3C: 0B8F8F12
	v_mul_f32_e32 v200, v22, v200                              // 000000008D40: 0B919116
	v_mul_f32_e32 v201, v22, v201                              // 000000008D44: 0B939316
	v_mul_f32_e32 v202, v22, v202                              // 000000008D48: 0B959516
	v_mul_f32_e32 v203, v22, v203                              // 000000008D4C: 0B979716
	v_mul_f32_dpp v200, v12, v200 row_newbcast:4 row_mask:0xf bank_mask:0xf// 000000008D50: 0B9190FA FF01540C
	v_mul_f32_dpp v201, v12, v201 row_newbcast:5 row_mask:0xf bank_mask:0xf// 000000008D58: 0B9392FA FF01550C
	v_mul_f32_dpp v202, v12, v202 row_newbcast:6 row_mask:0xf bank_mask:0xf// 000000008D60: 0B9594FA FF01560C
	v_mul_f32_dpp v203, v12, v203 row_newbcast:7 row_mask:0xf bank_mask:0xf// 000000008D68: 0B9796FA FF01570C
	v_mul_f32_e32 v200, v17, v200                              // 000000008D70: 0B919111
	v_mul_f32_e32 v201, v17, v201                              // 000000008D74: 0B939311
	v_mul_f32_e32 v202, v17, v202                              // 000000008D78: 0B959511
	v_mul_f32_e32 v203, v17, v203                              // 000000008D7C: 0B979711
	v_mul_f32_e32 v204, v23, v204                              // 000000008D80: 0B999917
	v_mul_f32_e32 v205, v23, v205                              // 000000008D84: 0B9B9B17
	v_mul_f32_e32 v206, v23, v206                              // 000000008D88: 0B9D9D17
	v_mul_f32_e32 v207, v23, v207                              // 000000008D8C: 0B9F9F17
	v_mul_f32_dpp v204, v12, v204 row_newbcast:4 row_mask:0xf bank_mask:0xf// 000000008D90: 0B9998FA FF01540C
	v_mul_f32_dpp v205, v12, v205 row_newbcast:5 row_mask:0xf bank_mask:0xf// 000000008D98: 0B9B9AFA FF01550C
	v_mul_f32_dpp v206, v12, v206 row_newbcast:6 row_mask:0xf bank_mask:0xf// 000000008DA0: 0B9D9CFA FF01560C
	v_mul_f32_dpp v207, v12, v207 row_newbcast:7 row_mask:0xf bank_mask:0xf// 000000008DA8: 0B9F9EFA FF01570C
	v_mul_f32_e32 v204, v18, v204                              // 000000008DB0: 0B999912
	v_mul_f32_e32 v205, v18, v205                              // 000000008DB4: 0B9B9B12
	v_mul_f32_e32 v206, v18, v206                              // 000000008DB8: 0B9D9D12
	v_mul_f32_e32 v207, v18, v207                              // 000000008DBC: 0B9F9F12
	v_mul_f32_e32 v208, v22, v208                              // 000000008DC0: 0BA1A116
	v_mul_f32_e32 v209, v22, v209                              // 000000008DC4: 0BA3A316
	v_mul_f32_e32 v210, v22, v210                              // 000000008DC8: 0BA5A516
	v_mul_f32_e32 v211, v22, v211                              // 000000008DCC: 0BA7A716
	v_mul_f32_dpp v208, v12, v208 row_newbcast:8 row_mask:0xf bank_mask:0xf// 000000008DD0: 0BA1A0FA FF01580C
	v_mul_f32_dpp v209, v12, v209 row_newbcast:9 row_mask:0xf bank_mask:0xf// 000000008DD8: 0BA3A2FA FF01590C
	v_mul_f32_dpp v210, v12, v210 row_newbcast:10 row_mask:0xf bank_mask:0xf// 000000008DE0: 0BA5A4FA FF015A0C
	v_mul_f32_dpp v211, v12, v211 row_newbcast:11 row_mask:0xf bank_mask:0xf// 000000008DE8: 0BA7A6FA FF015B0C
	v_mul_f32_e32 v208, v17, v208                              // 000000008DF0: 0BA1A111
	v_mul_f32_e32 v209, v17, v209                              // 000000008DF4: 0BA3A311
	v_mul_f32_e32 v210, v17, v210                              // 000000008DF8: 0BA5A511
	v_mul_f32_e32 v211, v17, v211                              // 000000008DFC: 0BA7A711
	v_mul_f32_e32 v212, v23, v212                              // 000000008E00: 0BA9A917
	v_mul_f32_e32 v213, v23, v213                              // 000000008E04: 0BABAB17
	v_mul_f32_e32 v214, v23, v214                              // 000000008E08: 0BADAD17
	v_mul_f32_e32 v215, v23, v215                              // 000000008E0C: 0BAFAF17
	v_mul_f32_dpp v212, v12, v212 row_newbcast:8 row_mask:0xf bank_mask:0xf// 000000008E10: 0BA9A8FA FF01580C
	v_mul_f32_dpp v213, v12, v213 row_newbcast:9 row_mask:0xf bank_mask:0xf// 000000008E18: 0BABAAFA FF01590C
	v_mul_f32_dpp v214, v12, v214 row_newbcast:10 row_mask:0xf bank_mask:0xf// 000000008E20: 0BADACFA FF015A0C
	v_mul_f32_dpp v215, v12, v215 row_newbcast:11 row_mask:0xf bank_mask:0xf// 000000008E28: 0BAFAEFA FF015B0C
	v_mul_f32_e32 v212, v18, v212                              // 000000008E30: 0BA9A912
	v_mul_f32_e32 v213, v18, v213                              // 000000008E34: 0BABAB12
	v_mul_f32_e32 v214, v18, v214                              // 000000008E38: 0BADAD12
	v_mul_f32_e32 v215, v18, v215                              // 000000008E3C: 0BAFAF12
	v_mul_f32_e32 v216, v22, v216                              // 000000008E40: 0BB1B116
	v_mul_f32_e32 v217, v22, v217                              // 000000008E44: 0BB3B316
	v_mul_f32_e32 v218, v22, v218                              // 000000008E48: 0BB5B516
	v_mul_f32_e32 v219, v22, v219                              // 000000008E4C: 0BB7B716
	v_mul_f32_dpp v216, v12, v216 row_newbcast:12 row_mask:0xf bank_mask:0xf// 000000008E50: 0BB1B0FA FF015C0C
	v_mul_f32_dpp v217, v12, v217 row_newbcast:13 row_mask:0xf bank_mask:0xf// 000000008E58: 0BB3B2FA FF015D0C
	v_mul_f32_dpp v218, v12, v218 row_newbcast:14 row_mask:0xf bank_mask:0xf// 000000008E60: 0BB5B4FA FF015E0C
	v_mul_f32_dpp v219, v12, v219 row_newbcast:15 row_mask:0xf bank_mask:0xf// 000000008E68: 0BB7B6FA FF015F0C
	v_mul_f32_e32 v216, v17, v216                              // 000000008E70: 0BB1B111
	v_mul_f32_e32 v217, v17, v217                              // 000000008E74: 0BB3B311
	v_mul_f32_e32 v218, v17, v218                              // 000000008E78: 0BB5B511
	v_mul_f32_e32 v219, v17, v219                              // 000000008E7C: 0BB7B711
	v_mul_f32_e32 v220, v23, v220                              // 000000008E80: 0BB9B917
	v_mul_f32_e32 v221, v23, v221                              // 000000008E84: 0BBBBB17
	v_mul_f32_e32 v222, v23, v222                              // 000000008E88: 0BBDBD17
	v_mul_f32_e32 v223, v23, v223                              // 000000008E8C: 0BBFBF17
	v_mul_f32_dpp v220, v12, v220 row_newbcast:12 row_mask:0xf bank_mask:0xf// 000000008E90: 0BB9B8FA FF015C0C
	v_mul_f32_dpp v221, v12, v221 row_newbcast:13 row_mask:0xf bank_mask:0xf// 000000008E98: 0BBBBAFA FF015D0C
	v_mul_f32_dpp v222, v12, v222 row_newbcast:14 row_mask:0xf bank_mask:0xf// 000000008EA0: 0BBDBCFA FF015E0C
	v_mul_f32_dpp v223, v12, v223 row_newbcast:15 row_mask:0xf bank_mask:0xf// 000000008EA8: 0BBFBEFA FF015F0C
	v_mul_f32_e32 v220, v18, v220                              // 000000008EB0: 0BB9B912
	v_mul_f32_e32 v221, v18, v221                              // 000000008EB4: 0BBBBB12
	v_mul_f32_e32 v222, v18, v222                              // 000000008EB8: 0BBDBD12
	v_mul_f32_e32 v223, v18, v223                              // 000000008EBC: 0BBFBF12
	v_cmp_u_f32_e64 s[48:49], v192, v192                       // 000000008EC0: D0480030 000381C0
	v_add3_u32 v40, v192, v43, 1                               // 000000008EC8: D1FF0028 020657C0
	v_cndmask_b32_e64 v46, v40, v42, s[48:49]                  // 000000008ED0: D100002E 00C25528
	v_cmp_u_f32_e64 s[48:49], v193, v193                       // 000000008ED8: D0480030 000383C1
	v_add3_u32 v40, v193, v43, 1                               // 000000008EE0: D1FF0028 020657C1
	v_cndmask_b32_e64 v47, v40, v42, s[48:49]                  // 000000008EE8: D100002F 00C25528
	v_perm_b32 v192, v47, v46, s52                             // 000000008EF0: D1ED00C0 00D25D2F
	v_cmp_u_f32_e64 s[48:49], v194, v194                       // 000000008EF8: D0480030 000385C2
	v_add3_u32 v40, v194, v43, 1                               // 000000008F00: D1FF0028 020657C2
	v_cndmask_b32_e64 v46, v40, v42, s[48:49]                  // 000000008F08: D100002E 00C25528
	v_cmp_u_f32_e64 s[48:49], v195, v195                       // 000000008F10: D0480030 000387C3
	v_add3_u32 v40, v195, v43, 1                               // 000000008F18: D1FF0028 020657C3
	v_cndmask_b32_e64 v47, v40, v42, s[48:49]                  // 000000008F20: D100002F 00C25528
	v_perm_b32 v193, v47, v46, s52                             // 000000008F28: D1ED00C1 00D25D2F
	v_cmp_u_f32_e64 s[48:49], v196, v196                       // 000000008F30: D0480030 000389C4
	v_add3_u32 v40, v196, v43, 1                               // 000000008F38: D1FF0028 020657C4
	v_cndmask_b32_e64 v46, v40, v42, s[48:49]                  // 000000008F40: D100002E 00C25528
	v_cmp_u_f32_e64 s[48:49], v197, v197                       // 000000008F48: D0480030 00038BC5
	v_add3_u32 v40, v197, v43, 1                               // 000000008F50: D1FF0028 020657C5
	v_cndmask_b32_e64 v47, v40, v42, s[48:49]                  // 000000008F58: D100002F 00C25528
	v_perm_b32 v194, v47, v46, s52                             // 000000008F60: D1ED00C2 00D25D2F
	v_cmp_u_f32_e64 s[48:49], v198, v198                       // 000000008F68: D0480030 00038DC6
	v_add3_u32 v40, v198, v43, 1                               // 000000008F70: D1FF0028 020657C6
	v_cndmask_b32_e64 v46, v40, v42, s[48:49]                  // 000000008F78: D100002E 00C25528
	v_cmp_u_f32_e64 s[48:49], v199, v199                       // 000000008F80: D0480030 00038FC7
	v_add3_u32 v40, v199, v43, 1                               // 000000008F88: D1FF0028 020657C7
	v_cndmask_b32_e64 v47, v40, v42, s[48:49]                  // 000000008F90: D100002F 00C25528
	v_perm_b32 v195, v47, v46, s52                             // 000000008F98: D1ED00C3 00D25D2F
	v_cmp_u_f32_e64 s[48:49], v200, v200                       // 000000008FA0: D0480030 000391C8
	v_add3_u32 v40, v200, v43, 1                               // 000000008FA8: D1FF0028 020657C8
	v_cndmask_b32_e64 v46, v40, v42, s[48:49]                  // 000000008FB0: D100002E 00C25528
	v_cmp_u_f32_e64 s[48:49], v201, v201                       // 000000008FB8: D0480030 000393C9
	v_add3_u32 v40, v201, v43, 1                               // 000000008FC0: D1FF0028 020657C9
	v_cndmask_b32_e64 v47, v40, v42, s[48:49]                  // 000000008FC8: D100002F 00C25528
	v_perm_b32 v196, v47, v46, s52                             // 000000008FD0: D1ED00C4 00D25D2F
	v_cmp_u_f32_e64 s[48:49], v202, v202                       // 000000008FD8: D0480030 000395CA
	v_add3_u32 v40, v202, v43, 1                               // 000000008FE0: D1FF0028 020657CA
	v_cndmask_b32_e64 v46, v40, v42, s[48:49]                  // 000000008FE8: D100002E 00C25528
	v_cmp_u_f32_e64 s[48:49], v203, v203                       // 000000008FF0: D0480030 000397CB
	v_add3_u32 v40, v203, v43, 1                               // 000000008FF8: D1FF0028 020657CB
	v_cndmask_b32_e64 v47, v40, v42, s[48:49]                  // 000000009000: D100002F 00C25528
	v_perm_b32 v197, v47, v46, s52                             // 000000009008: D1ED00C5 00D25D2F
	v_cmp_u_f32_e64 s[48:49], v204, v204                       // 000000009010: D0480030 000399CC
	v_add3_u32 v40, v204, v43, 1                               // 000000009018: D1FF0028 020657CC
	v_cndmask_b32_e64 v46, v40, v42, s[48:49]                  // 000000009020: D100002E 00C25528
	v_cmp_u_f32_e64 s[48:49], v205, v205                       // 000000009028: D0480030 00039BCD
	v_add3_u32 v40, v205, v43, 1                               // 000000009030: D1FF0028 020657CD
	v_cndmask_b32_e64 v47, v40, v42, s[48:49]                  // 000000009038: D100002F 00C25528
	v_perm_b32 v198, v47, v46, s52                             // 000000009040: D1ED00C6 00D25D2F
	v_cmp_u_f32_e64 s[48:49], v206, v206                       // 000000009048: D0480030 00039DCE
	v_add3_u32 v40, v206, v43, 1                               // 000000009050: D1FF0028 020657CE
	v_cndmask_b32_e64 v46, v40, v42, s[48:49]                  // 000000009058: D100002E 00C25528
	v_cmp_u_f32_e64 s[48:49], v207, v207                       // 000000009060: D0480030 00039FCF
	v_add3_u32 v40, v207, v43, 1                               // 000000009068: D1FF0028 020657CF
	v_cndmask_b32_e64 v47, v40, v42, s[48:49]                  // 000000009070: D100002F 00C25528
	v_perm_b32 v199, v47, v46, s52                             // 000000009078: D1ED00C7 00D25D2F
	v_cmp_u_f32_e64 s[48:49], v208, v208                       // 000000009080: D0480030 0003A1D0
	v_add3_u32 v40, v208, v43, 1                               // 000000009088: D1FF0028 020657D0
	v_cndmask_b32_e64 v46, v40, v42, s[48:49]                  // 000000009090: D100002E 00C25528
	v_cmp_u_f32_e64 s[48:49], v209, v209                       // 000000009098: D0480030 0003A3D1
	v_add3_u32 v40, v209, v43, 1                               // 0000000090A0: D1FF0028 020657D1
	v_cndmask_b32_e64 v47, v40, v42, s[48:49]                  // 0000000090A8: D100002F 00C25528
	v_perm_b32 v200, v47, v46, s52                             // 0000000090B0: D1ED00C8 00D25D2F
	v_cmp_u_f32_e64 s[48:49], v210, v210                       // 0000000090B8: D0480030 0003A5D2
	v_add3_u32 v40, v210, v43, 1                               // 0000000090C0: D1FF0028 020657D2
	v_cndmask_b32_e64 v46, v40, v42, s[48:49]                  // 0000000090C8: D100002E 00C25528
	v_cmp_u_f32_e64 s[48:49], v211, v211                       // 0000000090D0: D0480030 0003A7D3
	v_add3_u32 v40, v211, v43, 1                               // 0000000090D8: D1FF0028 020657D3
	v_cndmask_b32_e64 v47, v40, v42, s[48:49]                  // 0000000090E0: D100002F 00C25528
	v_perm_b32 v201, v47, v46, s52                             // 0000000090E8: D1ED00C9 00D25D2F
	v_cmp_u_f32_e64 s[48:49], v212, v212                       // 0000000090F0: D0480030 0003A9D4
	v_add3_u32 v40, v212, v43, 1                               // 0000000090F8: D1FF0028 020657D4
	v_cndmask_b32_e64 v46, v40, v42, s[48:49]                  // 000000009100: D100002E 00C25528
	v_cmp_u_f32_e64 s[48:49], v213, v213                       // 000000009108: D0480030 0003ABD5
	v_add3_u32 v40, v213, v43, 1                               // 000000009110: D1FF0028 020657D5
	v_cndmask_b32_e64 v47, v40, v42, s[48:49]                  // 000000009118: D100002F 00C25528
	v_perm_b32 v202, v47, v46, s52                             // 000000009120: D1ED00CA 00D25D2F
	v_cmp_u_f32_e64 s[48:49], v214, v214                       // 000000009128: D0480030 0003ADD6
	v_add3_u32 v40, v214, v43, 1                               // 000000009130: D1FF0028 020657D6
	v_cndmask_b32_e64 v46, v40, v42, s[48:49]                  // 000000009138: D100002E 00C25528
	v_cmp_u_f32_e64 s[48:49], v215, v215                       // 000000009140: D0480030 0003AFD7
	v_add3_u32 v40, v215, v43, 1                               // 000000009148: D1FF0028 020657D7
	v_cndmask_b32_e64 v47, v40, v42, s[48:49]                  // 000000009150: D100002F 00C25528
	v_perm_b32 v203, v47, v46, s52                             // 000000009158: D1ED00CB 00D25D2F
	v_cmp_u_f32_e64 s[48:49], v216, v216                       // 000000009160: D0480030 0003B1D8
	v_add3_u32 v40, v216, v43, 1                               // 000000009168: D1FF0028 020657D8
	v_cndmask_b32_e64 v46, v40, v42, s[48:49]                  // 000000009170: D100002E 00C25528
	v_cmp_u_f32_e64 s[48:49], v217, v217                       // 000000009178: D0480030 0003B3D9
	v_add3_u32 v40, v217, v43, 1                               // 000000009180: D1FF0028 020657D9
	v_cndmask_b32_e64 v47, v40, v42, s[48:49]                  // 000000009188: D100002F 00C25528
	v_perm_b32 v204, v47, v46, s52                             // 000000009190: D1ED00CC 00D25D2F
	v_cmp_u_f32_e64 s[48:49], v218, v218                       // 000000009198: D0480030 0003B5DA
	v_add3_u32 v40, v218, v43, 1                               // 0000000091A0: D1FF0028 020657DA
	v_cndmask_b32_e64 v46, v40, v42, s[48:49]                  // 0000000091A8: D100002E 00C25528
	v_cmp_u_f32_e64 s[48:49], v219, v219                       // 0000000091B0: D0480030 0003B7DB
	v_add3_u32 v40, v219, v43, 1                               // 0000000091B8: D1FF0028 020657DB
	v_cndmask_b32_e64 v47, v40, v42, s[48:49]                  // 0000000091C0: D100002F 00C25528
	v_perm_b32 v205, v47, v46, s52                             // 0000000091C8: D1ED00CD 00D25D2F
	v_cmp_u_f32_e64 s[48:49], v220, v220                       // 0000000091D0: D0480030 0003B9DC
	v_add3_u32 v40, v220, v43, 1                               // 0000000091D8: D1FF0028 020657DC
	v_cndmask_b32_e64 v46, v40, v42, s[48:49]                  // 0000000091E0: D100002E 00C25528
	v_cmp_u_f32_e64 s[48:49], v221, v221                       // 0000000091E8: D0480030 0003BBDD
	v_add3_u32 v40, v221, v43, 1                               // 0000000091F0: D1FF0028 020657DD
	v_cndmask_b32_e64 v47, v40, v42, s[48:49]                  // 0000000091F8: D100002F 00C25528
	v_perm_b32 v206, v47, v46, s52                             // 000000009200: D1ED00CE 00D25D2F
	v_cmp_u_f32_e64 s[48:49], v222, v222                       // 000000009208: D0480030 0003BDDE
	v_add3_u32 v40, v222, v43, 1                               // 000000009210: D1FF0028 020657DE
	v_cndmask_b32_e64 v46, v40, v42, s[48:49]                  // 000000009218: D100002E 00C25528
	v_cmp_u_f32_e64 s[48:49], v223, v223                       // 000000009220: D0480030 0003BFDF
	v_add3_u32 v40, v223, v43, 1                               // 000000009228: D1FF0028 020657DF
	v_cndmask_b32_e64 v47, v40, v42, s[48:49]                  // 000000009230: D100002F 00C25528
	v_perm_b32 v207, v47, v46, s52                             // 000000009238: D1ED00CF 00D25D2F
	s_cmp_ge_u32 s80, 0x200                                    // 000000009240: BF09FF50 00000200
	s_cselect_b32 s59, 0x200, s59                              // 000000009248: 853B3BFF 00000200
	s_setvskip s20, 0                                          // 000000009250: BF108014
	global_atomic_pk_add_bf16 v80, v64, s[8:9]                 // 000000009254: DD488000 00084050
	s_setvskip 0, 0                                            // 00000000925C: BF108080
	s_setvskip s20, 0                                          // 000000009260: BF108014
	global_atomic_pk_add_bf16 v80, v65, s[8:9] offset:256      // 000000009264: DD488100 00084150
	s_setvskip 0, 0                                            // 00000000926C: BF108080
	s_setvskip s20, 1                                          // 000000009270: BF108114
	global_atomic_pk_add_bf16 v82, v66, s[8:9]                 // 000000009274: DD488000 00084252
	s_setvskip 0, 0                                            // 00000000927C: BF108080
	s_setvskip s20, 1                                          // 000000009280: BF108114
	global_atomic_pk_add_bf16 v82, v67, s[8:9] offset:256      // 000000009284: DD488100 00084352
	s_setvskip 0, 0                                            // 00000000928C: BF108080
	s_setvskip s20, 2                                          // 000000009290: BF108214
	global_atomic_pk_add_bf16 v84, v68, s[8:9]                 // 000000009294: DD488000 00084454
	s_setvskip 0, 0                                            // 00000000929C: BF108080
	s_setvskip s20, 2                                          // 0000000092A0: BF108214
	global_atomic_pk_add_bf16 v84, v69, s[8:9] offset:256      // 0000000092A4: DD488100 00084554
	s_setvskip 0, 0                                            // 0000000092AC: BF108080
	s_setvskip s20, 3                                          // 0000000092B0: BF108314
	global_atomic_pk_add_bf16 v86, v70, s[8:9]                 // 0000000092B4: DD488000 00084656
	s_setvskip 0, 0                                            // 0000000092BC: BF108080
	s_setvskip s20, 3                                          // 0000000092C0: BF108314
	global_atomic_pk_add_bf16 v86, v71, s[8:9] offset:256      // 0000000092C4: DD488100 00084756
	s_setvskip 0, 0                                            // 0000000092CC: BF108080
	s_setvskip s20, 4                                          // 0000000092D0: BF108414
	global_atomic_pk_add_bf16 v88, v72, s[8:9]                 // 0000000092D4: DD488000 00084858
	s_setvskip 0, 0                                            // 0000000092DC: BF108080
	s_setvskip s20, 4                                          // 0000000092E0: BF108414
	global_atomic_pk_add_bf16 v88, v73, s[8:9] offset:256      // 0000000092E4: DD488100 00084958
	s_setvskip 0, 0                                            // 0000000092EC: BF108080
	s_setvskip s20, 5                                          // 0000000092F0: BF108514
	global_atomic_pk_add_bf16 v90, v74, s[8:9]                 // 0000000092F4: DD488000 00084A5A
	s_setvskip 0, 0                                            // 0000000092FC: BF108080
	s_setvskip s20, 5                                          // 000000009300: BF108514
	global_atomic_pk_add_bf16 v90, v75, s[8:9] offset:256      // 000000009304: DD488100 00084B5A
	s_setvskip 0, 0                                            // 00000000930C: BF108080
	s_setvskip s20, 6                                          // 000000009310: BF108614
	global_atomic_pk_add_bf16 v92, v76, s[8:9]                 // 000000009314: DD488000 00084C5C
	s_setvskip 0, 0                                            // 00000000931C: BF108080
	s_setvskip s20, 6                                          // 000000009320: BF108614
	global_atomic_pk_add_bf16 v92, v77, s[8:9] offset:256      // 000000009324: DD488100 00084D5C
	s_setvskip 0, 0                                            // 00000000932C: BF108080
	s_setvskip s20, 7                                          // 000000009330: BF108714
	global_atomic_pk_add_bf16 v94, v78, s[8:9]                 // 000000009334: DD488000 00084E5E
	s_setvskip 0, 0                                            // 00000000933C: BF108080
	s_setvskip s20, 7                                          // 000000009340: BF108714
	global_atomic_pk_add_bf16 v94, v79, s[8:9] offset:256      // 000000009344: DD488100 00084F5E
	s_setvskip 0, 0                                            // 00000000934C: BF108080
	s_add_u32 s8, s59, s8                                      // 000000009350: 8008083B
	s_addc_u32 s9, 0, s9                                       // 000000009354: 82090980
	s_addk_i32 s80, 0x100                                      // 000000009358: B7500100
	s_cmp_lt_i32 s80, s81                                      // 00000000935C: BF045150
	s_cbranch_scc0 label_0DCB                                  // 000000009360: BF84F472
	s_branch label_1439                                        // 000000009364: BF82FADF

0000000000009368 <label_195A>:
	s_cmp_ge_u32 s59, 0                                        // 000000009368: BF09803B
	s_cselect_b32 s59, 0x200, s59                              // 00000000936C: 853B3BFF 00000200
	s_waitcnt lgkmcnt(0)                                       // 000000009374: BF8CC07F
	s_barrier                                                  // 000000009378: BF8A0000
	s_cmp_eq_u32 s64, 0x100                                    // 00000000937C: BF06FF40 00000100
	s_cbranch_scc0 label_19D6                                  // 000000009384: BF840074
	ds_write_b64 v3, v[160:161] offset:18688                   // 000000009388: D89A4900 0000A003
	ds_write_b64 v3, v[162:163] offset:27392                   // 000000009390: D89A6B00 0000A203
	ds_write_b64 v3, v[164:165] offset:20864                   // 000000009398: D89A5180 0000A403
	ds_write_b64 v3, v[166:167] offset:29568                   // 0000000093A0: D89A7380 0000A603
	ds_write_b64 v3, v[168:169] offset:23040                   // 0000000093A8: D89A5A00 0000A803
	ds_write_b64 v3, v[170:171] offset:31744                   // 0000000093B0: D89A7C00 0000AA03
	ds_write_b64 v3, v[172:173] offset:25216                   // 0000000093B8: D89A6280 0000AC03
	ds_write_b64 v3, v[174:175] offset:33920                   // 0000000093C0: D89A8480 0000AE03
	s_waitcnt lgkmcnt(0)                                       // 0000000093C8: BF8CC07F
	s_barrier                                                  // 0000000093CC: BF8A0000
	ds_read_b32 v64, v4 offset:18688                           // 0000000093D0: D86C4900 40000004
	ds_read_b32 v65, v4 offset:23040                           // 0000000093D8: D86C5A00 41000004
	ds_read_b32 v66, v4 offset:18720                           // 0000000093E0: D86C4920 42000004
	ds_read_b32 v67, v4 offset:23072                           // 0000000093E8: D86C5A20 43000004
	ds_read_b32 v68, v4 offset:18752                           // 0000000093F0: D86C4940 44000004
	ds_read_b32 v69, v4 offset:23104                           // 0000000093F8: D86C5A40 45000004
	ds_read_b32 v70, v4 offset:18784                           // 000000009400: D86C4960 46000004
	ds_read_b32 v71, v4 offset:23136                           // 000000009408: D86C5A60 47000004
	ds_read_b32 v72, v4 offset:27392                           // 000000009410: D86C6B00 48000004
	ds_read_b32 v73, v4 offset:31744                           // 000000009418: D86C7C00 49000004
	ds_read_b32 v74, v4 offset:27424                           // 000000009420: D86C6B20 4A000004
	ds_read_b32 v75, v4 offset:31776                           // 000000009428: D86C7C20 4B000004
	ds_read_b32 v76, v4 offset:27456                           // 000000009430: D86C6B40 4C000004
	ds_read_b32 v77, v4 offset:31808                           // 000000009438: D86C7C40 4D000004
	ds_read_b32 v78, v4 offset:27488                           // 000000009440: D86C6B60 4E000004
	ds_read_b32 v79, v4 offset:31840                           // 000000009448: D86C7C60 4F000004
	s_waitcnt lgkmcnt(0)                                       // 000000009450: BF8CC07F
	s_setvskip s20, 0                                          // 000000009454: BF108014
	global_atomic_pk_add_bf16 v80, v64, s[8:9]                 // 000000009458: DD488000 00084050
	s_setvskip 0, 0                                            // 000000009460: BF108080
	s_setvskip s20, 0                                          // 000000009464: BF108014
	global_atomic_pk_add_bf16 v80, v65, s[8:9] offset:256      // 000000009468: DD488100 00084150
	s_setvskip 0, 0                                            // 000000009470: BF108080
	s_setvskip s20, 1                                          // 000000009474: BF108114
	global_atomic_pk_add_bf16 v82, v66, s[8:9]                 // 000000009478: DD488000 00084252
	s_setvskip 0, 0                                            // 000000009480: BF108080
	s_setvskip s20, 1                                          // 000000009484: BF108114
	global_atomic_pk_add_bf16 v82, v67, s[8:9] offset:256      // 000000009488: DD488100 00084352
	s_setvskip 0, 0                                            // 000000009490: BF108080
	s_setvskip s20, 2                                          // 000000009494: BF108214
	global_atomic_pk_add_bf16 v84, v68, s[8:9]                 // 000000009498: DD488000 00084454
	s_setvskip 0, 0                                            // 0000000094A0: BF108080
	s_setvskip s20, 2                                          // 0000000094A4: BF108214
	global_atomic_pk_add_bf16 v84, v69, s[8:9] offset:256      // 0000000094A8: DD488100 00084554
	s_setvskip 0, 0                                            // 0000000094B0: BF108080
	s_setvskip s20, 3                                          // 0000000094B4: BF108314
	global_atomic_pk_add_bf16 v86, v70, s[8:9]                 // 0000000094B8: DD488000 00084656
	s_setvskip 0, 0                                            // 0000000094C0: BF108080
	s_setvskip s20, 3                                          // 0000000094C4: BF108314
	global_atomic_pk_add_bf16 v86, v71, s[8:9] offset:256      // 0000000094C8: DD488100 00084756
	s_setvskip 0, 0                                            // 0000000094D0: BF108080
	s_setvskip s20, 4                                          // 0000000094D4: BF108414
	global_atomic_pk_add_bf16 v88, v72, s[8:9]                 // 0000000094D8: DD488000 00084858
	s_setvskip 0, 0                                            // 0000000094E0: BF108080
	s_setvskip s20, 4                                          // 0000000094E4: BF108414
	global_atomic_pk_add_bf16 v88, v73, s[8:9] offset:256      // 0000000094E8: DD488100 00084958
	s_setvskip 0, 0                                            // 0000000094F0: BF108080
	s_setvskip s20, 5                                          // 0000000094F4: BF108514
	global_atomic_pk_add_bf16 v90, v74, s[8:9]                 // 0000000094F8: DD488000 00084A5A
	s_setvskip 0, 0                                            // 000000009500: BF108080
	s_setvskip s20, 5                                          // 000000009504: BF108514
	global_atomic_pk_add_bf16 v90, v75, s[8:9] offset:256      // 000000009508: DD488100 00084B5A
	s_setvskip 0, 0                                            // 000000009510: BF108080
	s_setvskip s20, 6                                          // 000000009514: BF108614
	global_atomic_pk_add_bf16 v92, v76, s[8:9]                 // 000000009518: DD488000 00084C5C
	s_setvskip 0, 0                                            // 000000009520: BF108080
	s_setvskip s20, 6                                          // 000000009524: BF108614
	global_atomic_pk_add_bf16 v92, v77, s[8:9] offset:256      // 000000009528: DD488100 00084D5C
	s_setvskip 0, 0                                            // 000000009530: BF108080
	s_setvskip s20, 7                                          // 000000009534: BF108714
	global_atomic_pk_add_bf16 v94, v78, s[8:9]                 // 000000009538: DD488000 00084E5E
	s_setvskip 0, 0                                            // 000000009540: BF108080
	s_setvskip s20, 7                                          // 000000009544: BF108714
	global_atomic_pk_add_bf16 v94, v79, s[8:9] offset:256      // 000000009548: DD488100 00084F5E
	s_setvskip 0, 0                                            // 000000009550: BF108080
	s_branch label_1AAC                                        // 000000009554: BF8200D6

0000000000009558 <label_19D6>:
	ds_read_b32 v64, v4 offset:18688                           // 000000009558: D86C4900 40000004
	ds_read_b32 v65, v4 offset:23040                           // 000000009560: D86C5A00 41000004
	ds_read_b32 v66, v4 offset:18720                           // 000000009568: D86C4920 42000004
	ds_read_b32 v67, v4 offset:23072                           // 000000009570: D86C5A20 43000004
	ds_read_b32 v68, v4 offset:18752                           // 000000009578: D86C4940 44000004
	ds_read_b32 v69, v4 offset:23104                           // 000000009580: D86C5A40 45000004
	ds_read_b32 v70, v4 offset:18784                           // 000000009588: D86C4960 46000004
	ds_read_b32 v71, v4 offset:23136                           // 000000009590: D86C5A60 47000004
	ds_read_b32 v72, v4 offset:27392                           // 000000009598: D86C6B00 48000004
	ds_read_b32 v73, v4 offset:31744                           // 0000000095A0: D86C7C00 49000004
	ds_read_b32 v74, v4 offset:27424                           // 0000000095A8: D86C6B20 4A000004
	ds_read_b32 v75, v4 offset:31776                           // 0000000095B0: D86C7C20 4B000004
	ds_read_b32 v76, v4 offset:27456                           // 0000000095B8: D86C6B40 4C000004
	ds_read_b32 v77, v4 offset:31808                           // 0000000095C0: D86C7C40 4D000004
	ds_read_b32 v78, v4 offset:27488                           // 0000000095C8: D86C6B60 4E000004
	ds_read_b32 v79, v4 offset:31840                           // 0000000095D0: D86C7C60 4F000004
	s_waitcnt lgkmcnt(0)                                       // 0000000095D8: BF8CC07F
	s_setvskip s20, 0                                          // 0000000095DC: BF108014
	global_atomic_pk_add_bf16 v80, v64, s[8:9]                 // 0000000095E0: DD488000 00084050
	s_setvskip 0, 0                                            // 0000000095E8: BF108080
	s_setvskip s20, 0                                          // 0000000095EC: BF108014
	global_atomic_pk_add_bf16 v80, v65, s[8:9] offset:256      // 0000000095F0: DD488100 00084150
	s_setvskip 0, 0                                            // 0000000095F8: BF108080
	s_setvskip s20, 1                                          // 0000000095FC: BF108114
	global_atomic_pk_add_bf16 v82, v66, s[8:9]                 // 000000009600: DD488000 00084252
	s_setvskip 0, 0                                            // 000000009608: BF108080
	s_setvskip s20, 1                                          // 00000000960C: BF108114
	global_atomic_pk_add_bf16 v82, v67, s[8:9] offset:256      // 000000009610: DD488100 00084352
	s_setvskip 0, 0                                            // 000000009618: BF108080
	s_setvskip s20, 2                                          // 00000000961C: BF108214
	global_atomic_pk_add_bf16 v84, v68, s[8:9]                 // 000000009620: DD488000 00084454
	s_setvskip 0, 0                                            // 000000009628: BF108080
	s_setvskip s20, 2                                          // 00000000962C: BF108214
	global_atomic_pk_add_bf16 v84, v69, s[8:9] offset:256      // 000000009630: DD488100 00084554
	s_setvskip 0, 0                                            // 000000009638: BF108080
	s_setvskip s20, 3                                          // 00000000963C: BF108314
	global_atomic_pk_add_bf16 v86, v70, s[8:9]                 // 000000009640: DD488000 00084656
	s_setvskip 0, 0                                            // 000000009648: BF108080
	s_setvskip s20, 3                                          // 00000000964C: BF108314
	global_atomic_pk_add_bf16 v86, v71, s[8:9] offset:256      // 000000009650: DD488100 00084756
	s_setvskip 0, 0                                            // 000000009658: BF108080
	s_setvskip s20, 4                                          // 00000000965C: BF108414
	global_atomic_pk_add_bf16 v88, v72, s[8:9]                 // 000000009660: DD488000 00084858
	s_setvskip 0, 0                                            // 000000009668: BF108080
	s_setvskip s20, 4                                          // 00000000966C: BF108414
	global_atomic_pk_add_bf16 v88, v73, s[8:9] offset:256      // 000000009670: DD488100 00084958
	s_setvskip 0, 0                                            // 000000009678: BF108080
	s_setvskip s20, 5                                          // 00000000967C: BF108514
	global_atomic_pk_add_bf16 v90, v74, s[8:9]                 // 000000009680: DD488000 00084A5A
	s_setvskip 0, 0                                            // 000000009688: BF108080
	s_setvskip s20, 5                                          // 00000000968C: BF108514
	global_atomic_pk_add_bf16 v90, v75, s[8:9] offset:256      // 000000009690: DD488100 00084B5A
	s_setvskip 0, 0                                            // 000000009698: BF108080
	s_setvskip s20, 6                                          // 00000000969C: BF108614
	global_atomic_pk_add_bf16 v92, v76, s[8:9]                 // 0000000096A0: DD488000 00084C5C
	s_setvskip 0, 0                                            // 0000000096A8: BF108080
	s_setvskip s20, 6                                          // 0000000096AC: BF108614
	global_atomic_pk_add_bf16 v92, v77, s[8:9] offset:256      // 0000000096B0: DD488100 00084D5C
	s_setvskip 0, 0                                            // 0000000096B8: BF108080
	s_setvskip s20, 7                                          // 0000000096BC: BF108714
	global_atomic_pk_add_bf16 v94, v78, s[8:9]                 // 0000000096C0: DD488000 00084E5E
	s_setvskip 0, 0                                            // 0000000096C8: BF108080
	s_setvskip s20, 7                                          // 0000000096CC: BF108714
	global_atomic_pk_add_bf16 v94, v79, s[8:9] offset:256      // 0000000096D0: DD488100 00084F5E
	s_setvskip 0, 0                                            // 0000000096D8: BF108080
	s_add_u32 s8, s59, s8                                      // 0000000096DC: 8008083B
	s_addc_u32 s9, 0, s9                                       // 0000000096E0: 82090980
	ds_write_b64 v3, v[192:193] offset:36096                   // 0000000096E4: D89A8D00 0000C003
	ds_write_b64 v3, v[194:195] offset:44800                   // 0000000096EC: D89AAF00 0000C203
	ds_write_b64 v3, v[196:197] offset:38272                   // 0000000096F4: D89A9580 0000C403
	ds_write_b64 v3, v[198:199] offset:46976                   // 0000000096FC: D89AB780 0000C603
	ds_write_b64 v3, v[200:201] offset:40448                   // 000000009704: D89A9E00 0000C803
	ds_write_b64 v3, v[202:203] offset:49152                   // 00000000970C: D89AC000 0000CA03
	ds_write_b64 v3, v[204:205] offset:42624                   // 000000009714: D89AA680 0000CC03
	ds_write_b64 v3, v[206:207] offset:51328                   // 00000000971C: D89AC880 0000CE03
	s_waitcnt lgkmcnt(0)                                       // 000000009724: BF8CC07F
	s_barrier                                                  // 000000009728: BF8A0000
	ds_read_b32 v64, v4 offset:36096                           // 00000000972C: D86C8D00 40000004
	ds_read_b32 v65, v4 offset:40448                           // 000000009734: D86C9E00 41000004
	ds_read_b32 v66, v4 offset:36128                           // 00000000973C: D86C8D20 42000004
	ds_read_b32 v67, v4 offset:40480                           // 000000009744: D86C9E20 43000004
	ds_read_b32 v68, v4 offset:36160                           // 00000000974C: D86C8D40 44000004
	ds_read_b32 v69, v4 offset:40512                           // 000000009754: D86C9E40 45000004
	ds_read_b32 v70, v4 offset:36192                           // 00000000975C: D86C8D60 46000004
	ds_read_b32 v71, v4 offset:40544                           // 000000009764: D86C9E60 47000004
	ds_read_b32 v72, v4 offset:44800                           // 00000000976C: D86CAF00 48000004
	ds_read_b32 v73, v4 offset:49152                           // 000000009774: D86CC000 49000004
	ds_read_b32 v74, v4 offset:44832                           // 00000000977C: D86CAF20 4A000004
	ds_read_b32 v75, v4 offset:49184                           // 000000009784: D86CC020 4B000004
	ds_read_b32 v76, v4 offset:44864                           // 00000000978C: D86CAF40 4C000004
	ds_read_b32 v77, v4 offset:49216                           // 000000009794: D86CC040 4D000004
	ds_read_b32 v78, v4 offset:44896                           // 00000000979C: D86CAF60 4E000004
	ds_read_b32 v79, v4 offset:49248                           // 0000000097A4: D86CC060 4F000004
	s_waitcnt lgkmcnt(0)                                       // 0000000097AC: BF8CC07F
	s_setvskip s20, 0                                          // 0000000097B0: BF108014
	global_atomic_pk_add_bf16 v80, v64, s[8:9]                 // 0000000097B4: DD488000 00084050
	s_setvskip 0, 0                                            // 0000000097BC: BF108080
	s_setvskip s20, 0                                          // 0000000097C0: BF108014
	global_atomic_pk_add_bf16 v80, v65, s[8:9] offset:256      // 0000000097C4: DD488100 00084150
	s_setvskip 0, 0                                            // 0000000097CC: BF108080
	s_setvskip s20, 1                                          // 0000000097D0: BF108114
	global_atomic_pk_add_bf16 v82, v66, s[8:9]                 // 0000000097D4: DD488000 00084252
	s_setvskip 0, 0                                            // 0000000097DC: BF108080
	s_setvskip s20, 1                                          // 0000000097E0: BF108114
	global_atomic_pk_add_bf16 v82, v67, s[8:9] offset:256      // 0000000097E4: DD488100 00084352
	s_setvskip 0, 0                                            // 0000000097EC: BF108080
	s_setvskip s20, 2                                          // 0000000097F0: BF108214
	global_atomic_pk_add_bf16 v84, v68, s[8:9]                 // 0000000097F4: DD488000 00084454
	s_setvskip 0, 0                                            // 0000000097FC: BF108080
	s_setvskip s20, 2                                          // 000000009800: BF108214
	global_atomic_pk_add_bf16 v84, v69, s[8:9] offset:256      // 000000009804: DD488100 00084554
	s_setvskip 0, 0                                            // 00000000980C: BF108080
	s_setvskip s20, 3                                          // 000000009810: BF108314
	global_atomic_pk_add_bf16 v86, v70, s[8:9]                 // 000000009814: DD488000 00084656
	s_setvskip 0, 0                                            // 00000000981C: BF108080
	s_setvskip s20, 3                                          // 000000009820: BF108314
	global_atomic_pk_add_bf16 v86, v71, s[8:9] offset:256      // 000000009824: DD488100 00084756
	s_setvskip 0, 0                                            // 00000000982C: BF108080
	s_setvskip s20, 4                                          // 000000009830: BF108414
	global_atomic_pk_add_bf16 v88, v72, s[8:9]                 // 000000009834: DD488000 00084858
	s_setvskip 0, 0                                            // 00000000983C: BF108080
	s_setvskip s20, 4                                          // 000000009840: BF108414
	global_atomic_pk_add_bf16 v88, v73, s[8:9] offset:256      // 000000009844: DD488100 00084958
	s_setvskip 0, 0                                            // 00000000984C: BF108080
	s_setvskip s20, 5                                          // 000000009850: BF108514
	global_atomic_pk_add_bf16 v90, v74, s[8:9]                 // 000000009854: DD488000 00084A5A
	s_setvskip 0, 0                                            // 00000000985C: BF108080
	s_setvskip s20, 5                                          // 000000009860: BF108514
	global_atomic_pk_add_bf16 v90, v75, s[8:9] offset:256      // 000000009864: DD488100 00084B5A
	s_setvskip 0, 0                                            // 00000000986C: BF108080
	s_setvskip s20, 6                                          // 000000009870: BF108614
	global_atomic_pk_add_bf16 v92, v76, s[8:9]                 // 000000009874: DD488000 00084C5C
	s_setvskip 0, 0                                            // 00000000987C: BF108080
	s_setvskip s20, 6                                          // 000000009880: BF108614
	global_atomic_pk_add_bf16 v92, v77, s[8:9] offset:256      // 000000009884: DD488100 00084D5C
	s_setvskip 0, 0                                            // 00000000988C: BF108080
	s_setvskip s20, 7                                          // 000000009890: BF108714
	global_atomic_pk_add_bf16 v94, v78, s[8:9]                 // 000000009894: DD488000 00084E5E
	s_setvskip 0, 0                                            // 00000000989C: BF108080
	s_setvskip s20, 7                                          // 0000000098A0: BF108714
	global_atomic_pk_add_bf16 v94, v79, s[8:9] offset:256      // 0000000098A4: DD488100 00084F5E
	s_setvskip 0, 0                                            // 0000000098AC: BF108080

00000000000098b0 <label_1AAC>:
	s_waitcnt vmcnt(0) expcnt(0) lgkmcnt(0)                    // 0000000098B0: BF8C0000
	s_endpgm                                                   // 0000000098B4: BF810000
